;; amdgpu-corpus repo=ROCm/rocSPARSE kind=compiled arch=gfx906 opt=O3
	.amdgcn_target "amdgcn-amd-amdhsa--gfx906"
	.amdhsa_code_object_version 6
	.section	.text._ZN9rocsparseL29bsrmmnn_small_blockdim_kernelILj64ELj8ELj2EiiffffEEv20rocsparse_direction_T3_S2_llNS_24const_host_device_scalarIT7_EEPKT2_PKS2_PKT4_PKT5_llS5_PT6_ll16rocsparse_order_21rocsparse_index_base_b,"axG",@progbits,_ZN9rocsparseL29bsrmmnn_small_blockdim_kernelILj64ELj8ELj2EiiffffEEv20rocsparse_direction_T3_S2_llNS_24const_host_device_scalarIT7_EEPKT2_PKS2_PKT4_PKT5_llS5_PT6_ll16rocsparse_order_21rocsparse_index_base_b,comdat
	.globl	_ZN9rocsparseL29bsrmmnn_small_blockdim_kernelILj64ELj8ELj2EiiffffEEv20rocsparse_direction_T3_S2_llNS_24const_host_device_scalarIT7_EEPKT2_PKS2_PKT4_PKT5_llS5_PT6_ll16rocsparse_order_21rocsparse_index_base_b ; -- Begin function _ZN9rocsparseL29bsrmmnn_small_blockdim_kernelILj64ELj8ELj2EiiffffEEv20rocsparse_direction_T3_S2_llNS_24const_host_device_scalarIT7_EEPKT2_PKS2_PKT4_PKT5_llS5_PT6_ll16rocsparse_order_21rocsparse_index_base_b
	.p2align	8
	.type	_ZN9rocsparseL29bsrmmnn_small_blockdim_kernelILj64ELj8ELj2EiiffffEEv20rocsparse_direction_T3_S2_llNS_24const_host_device_scalarIT7_EEPKT2_PKS2_PKT4_PKT5_llS5_PT6_ll16rocsparse_order_21rocsparse_index_base_b,@function
_ZN9rocsparseL29bsrmmnn_small_blockdim_kernelILj64ELj8ELj2EiiffffEEv20rocsparse_direction_T3_S2_llNS_24const_host_device_scalarIT7_EEPKT2_PKS2_PKT4_PKT5_llS5_PT6_ll16rocsparse_order_21rocsparse_index_base_b: ; @_ZN9rocsparseL29bsrmmnn_small_blockdim_kernelILj64ELj8ELj2EiiffffEEv20rocsparse_direction_T3_S2_llNS_24const_host_device_scalarIT7_EEPKT2_PKS2_PKT4_PKT5_llS5_PT6_ll16rocsparse_order_21rocsparse_index_base_b
; %bb.0:
	s_load_dwordx4 s[16:19], s[4:5], 0x78
	s_load_dwordx2 s[28:29], s[4:5], 0x20
	s_load_dwordx2 s[30:31], s[4:5], 0x58
	s_waitcnt lgkmcnt(0)
	s_bitcmp1_b32 s18, 0
	s_cselect_b64 s[2:3], -1, 0
	s_xor_b64 s[0:1], s[2:3], -1
	s_and_b64 vcc, exec, s[2:3]
	s_cbranch_vccnz .LBB0_2
; %bb.1:
	s_load_dword s28, s[28:29], 0x0
.LBB0_2:
	s_andn2_b64 vcc, exec, s[0:1]
	s_cbranch_vccnz .LBB0_4
; %bb.3:
	s_load_dword s30, s[30:31], 0x0
.LBB0_4:
	s_waitcnt lgkmcnt(0)
	v_cmp_eq_f32_e64 s[0:1], s28, 0
	v_cmp_eq_f32_e64 s[2:3], s30, 1.0
	s_and_b64 s[0:1], s[0:1], s[2:3]
	s_and_b64 vcc, exec, s[0:1]
	s_cbranch_vccnz .LBB0_28
; %bb.5:
	s_load_dword s0, s[4:5], 0x88
	s_load_dwordx4 s[20:23], s[4:5], 0x0
	s_add_u32 s1, s4, 0x88
	s_addc_u32 s3, s5, 0
	v_mov_b32_e32 v1, 0
	s_waitcnt lgkmcnt(0)
	s_cmp_lt_u32 s6, s0
	s_cselect_b32 s2, 12, 18
	s_add_u32 s2, s1, s2
	s_addc_u32 s3, s3, 0
	global_load_ushort v4, v1, s[2:3]
	s_waitcnt vmcnt(0)
	v_mul_lo_u32 v2, s6, v4
	v_add_u32_e32 v3, v2, v0
	v_lshrrev_b32_e32 v2, 4, v3
	v_cmp_gt_i32_e32 vcc, s21, v2
	s_and_saveexec_b64 s[2:3], vcc
	s_cbranch_execz .LBB0_28
; %bb.6:
	v_mul_lo_u32 v4, s0, v4
	s_load_dwordx4 s[24:27], s[4:5], 0x60
	s_load_dwordx2 s[0:1], s[4:5], 0x48
	v_and_b32_e32 v11, 7, v3
	v_lshl_or_b32 v6, s7, 3, v11
	v_ashrrev_i32_e32 v7, 31, v6
	v_lshrrev_b32_e32 v12, 4, v4
	s_waitcnt lgkmcnt(0)
	v_mul_lo_u32 v13, s0, v7
	v_mul_lo_u32 v14, s1, v6
	v_mad_u64_u32 v[8:9], s[0:1], s0, v6, 0
	v_lshrrev_b32_e32 v10, 3, v3
	v_bfe_u32 v18, v3, 3, 1
	v_lshlrev_b64 v[3:4], 2, v[6:7]
	s_load_dwordx8 s[8:15], s[4:5], 0x28
	v_mov_b32_e32 v5, s25
	v_add_co_u32_e32 v19, vcc, s24, v3
	v_add3_u32 v9, v9, v13, v14
	v_addc_co_u32_e32 v20, vcc, v5, v4, vcc
	v_lshlrev_b64 v[3:4], 2, v[8:9]
	v_mad_u64_u32 v[8:9], s[0:1], s26, v10, 0
	v_lshrrev_b32_e32 v5, 3, v0
	v_mov_b32_e32 v0, 0x300
	v_lshl_or_b32 v13, v5, 5, v0
	s_waitcnt lgkmcnt(0)
	v_mov_b32_e32 v0, s15
	v_add_co_u32_e32 v15, vcc, s14, v3
	v_addc_co_u32_e32 v16, vcc, v0, v4, vcc
	v_mov_b32_e32 v0, v9
	v_mad_u64_u32 v[3:4], s[0:1], s27, v10, v[0:1]
	v_mul_u32_u24_e32 v17, 0x60, v5
	v_cmp_gt_i32_e64 s[0:1], s22, v6
	v_mov_b32_e32 v9, v3
	v_lshlrev_b64 v[4:5], 2, v[8:9]
	v_mul_lo_u32 v8, s26, v7
	v_add_co_u32_e64 v4, s[2:3], v19, v4
	v_addc_co_u32_e64 v5, s[2:3], v20, v5, s[2:3]
	v_mul_lo_u32 v9, s27, v6
	v_mad_u64_u32 v[6:7], s[2:3], s26, v6, 0
	s_cmp_eq_u32 s20, 0
	v_lshlrev_b32_e32 v22, 1, v18
	v_add3_u32 v7, v7, v8, v9
	v_lshlrev_b64 v[6:7], 2, v[6:7]
	v_mov_b32_e32 v8, s25
	v_add_co_u32_e64 v6, s[2:3], s24, v6
	v_addc_co_u32_e64 v7, s[2:3], v8, v7, s[2:3]
	v_lshlrev_b32_e32 v8, 2, v10
	v_add_co_u32_e64 v6, s[2:3], v6, v8
	v_or_b32_e32 v21, 2, v18
	s_cselect_b64 vcc, -1, 0
	v_mul_u32_u24_e32 v0, 12, v11
	v_or_b32_e32 v3, 1, v22
	s_cmp_lg_u32 s16, 1
	v_addc_co_u32_e64 v7, s[2:3], 0, v7, s[2:3]
	v_lshl_or_b32 v14, v11, 2, v13
	v_cmp_neq_f32_e64 s[4:5], s30, 0
	s_cselect_b64 s[6:7], -1, 0
	v_cndmask_b32_e32 v18, v18, v22, vcc
	v_cndmask_b32_e32 v19, v21, v3, vcc
	v_subrev_u32_e32 v20, s17, v11
	s_mov_b64 s[2:3], 0
	v_add_u32_e32 v21, v17, v0
	s_branch .LBB0_8
.LBB0_7:                                ;   in Loop: Header=BB0_8 Depth=1
	s_or_b64 exec, exec, s[14:15]
	v_add_u32_e32 v2, v2, v12
	v_cmp_le_i32_e32 vcc, s21, v2
	s_or_b64 s[2:3], vcc, s[2:3]
	s_andn2_b64 exec, exec, s[2:3]
	s_cbranch_execz .LBB0_28
.LBB0_8:                                ; =>This Loop Header: Depth=1
                                        ;     Child Loop BB0_11 Depth 2
	v_mov_b32_e32 v3, v1
	v_lshlrev_b64 v[8:9], 2, v[2:3]
	v_mov_b32_e32 v0, s9
	v_add_co_u32_e32 v8, vcc, s8, v8
	v_addc_co_u32_e32 v9, vcc, v0, v9, vcc
	global_load_dwordx2 v[8:9], v[8:9], off
	v_mov_b32_e32 v3, 0
	s_waitcnt vmcnt(0)
	v_cmp_lt_i32_e32 vcc, v8, v9
	s_and_saveexec_b64 s[14:15], vcc
	s_cbranch_execz .LBB0_16
; %bb.9:                                ;   in Loop: Header=BB0_8 Depth=1
	v_add_lshl_u32 v0, v20, v8, 2
	v_subrev_u32_e32 v22, s17, v9
	v_subrev_u32_e32 v23, s17, v8
	v_or_b32_e32 v8, v19, v0
	v_or_b32_e32 v0, v18, v0
	v_mov_b32_e32 v3, 0
	s_mov_b64 s[18:19], 0
	s_branch .LBB0_11
.LBB0_10:                               ;   in Loop: Header=BB0_11 Depth=2
	s_or_b64 exec, exec, s[22:23]
	v_add_u32_e32 v23, 8, v23
	v_cmp_ge_i32_e32 vcc, v23, v22
	v_add_u32_e32 v8, 32, v8
	s_or_b64 s[18:19], vcc, s[18:19]
	v_add_u32_e32 v0, 32, v0
	s_andn2_b64 exec, exec, s[18:19]
	s_cbranch_execz .LBB0_15
.LBB0_11:                               ;   Parent Loop BB0_8 Depth=1
                                        ; =>  This Inner Loop Header: Depth=2
	v_add_u32_e32 v9, v11, v23
	v_cmp_lt_i32_e32 vcc, v9, v22
	v_mov_b32_e32 v10, 0
	v_mov_b32_e32 v24, 0
	;; [unrolled: 1-line block ×3, first 2 shown]
	s_and_saveexec_b64 s[22:23], vcc
	s_cbranch_execz .LBB0_13
; %bb.12:                               ;   in Loop: Header=BB0_11 Depth=2
	v_ashrrev_i32_e32 v10, 31, v9
	v_lshlrev_b64 v[9:10], 2, v[9:10]
	v_mov_b32_e32 v24, s11
	v_add_co_u32_e32 v9, vcc, s10, v9
	v_addc_co_u32_e32 v10, vcc, v24, v10, vcc
	global_load_dword v9, v[9:10], off
	v_lshlrev_b64 v[24:25], 2, v[0:1]
	v_add_co_u32_e32 v24, vcc, s12, v24
	s_waitcnt vmcnt(0)
	v_subrev_u32_e32 v9, s17, v9
	v_lshlrev_b32_e32 v10, 1, v9
	v_mov_b32_e32 v9, s13
	v_addc_co_u32_e32 v25, vcc, v9, v25, vcc
	v_mov_b32_e32 v9, v1
	global_load_dword v24, v[24:25], off
	v_lshlrev_b64 v[25:26], 2, v[8:9]
	v_mov_b32_e32 v9, s13
	v_add_co_u32_e32 v25, vcc, s12, v25
	v_addc_co_u32_e32 v26, vcc, v9, v26, vcc
	global_load_dword v25, v[25:26], off
.LBB0_13:                               ;   in Loop: Header=BB0_11 Depth=2
	s_or_b64 exec, exec, s[22:23]
	ds_write_b32 v14, v10
	s_waitcnt vmcnt(0)
	ds_write2_b32 v21, v24, v25 offset1:1
	s_waitcnt lgkmcnt(0)
	; wave barrier
	s_and_saveexec_b64 s[22:23], s[0:1]
	s_cbranch_execz .LBB0_10
; %bb.14:                               ;   in Loop: Header=BB0_11 Depth=2
	ds_read_b128 v[24:27], v13
	ds_read_b128 v[28:31], v13 offset:16
	s_waitcnt lgkmcnt(1)
	v_ashrrev_i32_e32 v10, 31, v24
	v_mov_b32_e32 v9, v24
	v_lshlrev_b64 v[9:10], 2, v[9:10]
	v_ashrrev_i32_e32 v33, 31, v25
	v_mov_b32_e32 v32, v25
	v_add_co_u32_e32 v9, vcc, v15, v9
	v_lshlrev_b64 v[24:25], 2, v[32:33]
	v_addc_co_u32_e32 v10, vcc, v16, v10, vcc
	v_add_co_u32_e32 v24, vcc, v15, v24
	v_addc_co_u32_e32 v25, vcc, v16, v25, vcc
	global_load_dwordx2 v[32:33], v[9:10], off
	global_load_dwordx2 v[34:35], v[24:25], off
	v_ashrrev_i32_e32 v10, 31, v26
	v_mov_b32_e32 v9, v26
	v_lshlrev_b64 v[9:10], 2, v[9:10]
	v_ashrrev_i32_e32 v25, 31, v27
	v_mov_b32_e32 v24, v27
	v_add_co_u32_e32 v9, vcc, v15, v9
	v_lshlrev_b64 v[24:25], 2, v[24:25]
	v_addc_co_u32_e32 v10, vcc, v16, v10, vcc
	v_add_co_u32_e32 v24, vcc, v15, v24
	v_addc_co_u32_e32 v25, vcc, v16, v25, vcc
	global_load_dwordx2 v[9:10], v[9:10], off
	s_waitcnt lgkmcnt(0)
	v_ashrrev_i32_e32 v27, 31, v29
	global_load_dwordx2 v[36:37], v[24:25], off
	v_ashrrev_i32_e32 v25, 31, v28
	v_mov_b32_e32 v24, v28
	v_lshlrev_b64 v[24:25], 2, v[24:25]
	v_mov_b32_e32 v26, v29
	v_lshlrev_b64 v[26:27], 2, v[26:27]
	v_add_co_u32_e32 v24, vcc, v15, v24
	v_ashrrev_i32_e32 v29, 31, v30
	v_mov_b32_e32 v28, v30
	v_addc_co_u32_e32 v25, vcc, v16, v25, vcc
	v_lshlrev_b64 v[28:29], 2, v[28:29]
	v_add_co_u32_e32 v26, vcc, v15, v26
	v_addc_co_u32_e32 v27, vcc, v16, v27, vcc
	v_ashrrev_i32_e32 v39, 31, v31
	v_mov_b32_e32 v38, v31
	v_add_co_u32_e32 v28, vcc, v15, v28
	v_lshlrev_b64 v[30:31], 2, v[38:39]
	v_addc_co_u32_e32 v29, vcc, v16, v29, vcc
	global_load_dwordx2 v[38:39], v[24:25], off
	global_load_dwordx2 v[40:41], v[26:27], off
	;; [unrolled: 1-line block ×3, first 2 shown]
	v_add_co_u32_e32 v24, vcc, v15, v30
	v_addc_co_u32_e32 v25, vcc, v16, v31, vcc
	global_load_dwordx2 v[44:45], v[24:25], off
	ds_read2_b64 v[24:27], v17 offset1:3
	ds_read2_b32 v[28:29], v17 offset0:3 offset1:4
	ds_read2_b32 v[46:47], v17 offset0:9 offset1:10
	s_waitcnt vmcnt(7) lgkmcnt(2)
	v_fmac_f32_e32 v3, v24, v32
	v_fmac_f32_e32 v3, v25, v33
	s_waitcnt vmcnt(6) lgkmcnt(1)
	v_fmac_f32_e32 v3, v28, v34
	v_fmac_f32_e32 v3, v29, v35
	ds_read2_b64 v[28:31], v17 offset0:6 offset1:9
	ds_read2_b32 v[24:25], v17 offset0:15 offset1:16
	s_waitcnt vmcnt(5)
	v_fmac_f32_e32 v3, v26, v9
	v_fmac_f32_e32 v3, v27, v10
	s_waitcnt vmcnt(4) lgkmcnt(2)
	v_fmac_f32_e32 v3, v46, v36
	v_fmac_f32_e32 v3, v47, v37
	ds_read2_b32 v[9:10], v17 offset0:21 offset1:22
	s_waitcnt vmcnt(3) lgkmcnt(2)
	v_fmac_f32_e32 v3, v28, v38
	v_fmac_f32_e32 v3, v29, v39
	s_waitcnt vmcnt(2) lgkmcnt(1)
	v_fmac_f32_e32 v3, v24, v40
	v_fmac_f32_e32 v3, v25, v41
	s_waitcnt vmcnt(1)
	v_fmac_f32_e32 v3, v30, v42
	v_fmac_f32_e32 v3, v31, v43
	s_waitcnt vmcnt(0) lgkmcnt(0)
	v_fmac_f32_e32 v3, v9, v44
	v_fmac_f32_e32 v3, v10, v45
	s_branch .LBB0_10
.LBB0_15:                               ;   in Loop: Header=BB0_8 Depth=1
	s_or_b64 exec, exec, s[18:19]
.LBB0_16:                               ;   in Loop: Header=BB0_8 Depth=1
	s_or_b64 exec, exec, s[14:15]
	s_and_saveexec_b64 s[14:15], s[0:1]
	s_cbranch_execz .LBB0_7
; %bb.17:                               ;   in Loop: Header=BB0_8 Depth=1
	v_mul_f32_e32 v0, s28, v3
	s_mov_b64 s[18:19], -1
	s_and_b64 vcc, exec, s[4:5]
	s_cbranch_vccz .LBB0_23
; %bb.18:                               ;   in Loop: Header=BB0_8 Depth=1
	s_and_b64 vcc, exec, s[6:7]
	s_cbranch_vccz .LBB0_20
; %bb.19:                               ;   in Loop: Header=BB0_8 Depth=1
	global_load_dword v3, v[4:5], off
	s_mov_b64 s[18:19], 0
	s_waitcnt vmcnt(0)
	v_fma_f32 v3, s30, v3, v0
	global_store_dword v[4:5], v3, off
.LBB0_20:                               ;   in Loop: Header=BB0_8 Depth=1
	s_andn2_b64 vcc, exec, s[18:19]
	s_cbranch_vccnz .LBB0_22
; %bb.21:                               ;   in Loop: Header=BB0_8 Depth=1
	global_load_dword v3, v[6:7], off
	s_waitcnt vmcnt(0)
	v_fma_f32 v3, s30, v3, v0
	global_store_dword v[6:7], v3, off
.LBB0_22:                               ;   in Loop: Header=BB0_8 Depth=1
	s_mov_b64 s[18:19], 0
.LBB0_23:                               ;   in Loop: Header=BB0_8 Depth=1
	s_andn2_b64 vcc, exec, s[18:19]
	s_cbranch_vccnz .LBB0_7
; %bb.24:                               ;   in Loop: Header=BB0_8 Depth=1
	s_mov_b64 s[18:19], -1
	s_and_b64 vcc, exec, s[6:7]
	s_cbranch_vccz .LBB0_26
; %bb.25:                               ;   in Loop: Header=BB0_8 Depth=1
	global_store_dword v[4:5], v0, off
	s_mov_b64 s[18:19], 0
.LBB0_26:                               ;   in Loop: Header=BB0_8 Depth=1
	s_andn2_b64 vcc, exec, s[18:19]
	s_cbranch_vccnz .LBB0_7
; %bb.27:                               ;   in Loop: Header=BB0_8 Depth=1
	global_store_dword v[6:7], v0, off
	s_branch .LBB0_7
.LBB0_28:
	s_endpgm
	.section	.rodata,"a",@progbits
	.p2align	6, 0x0
	.amdhsa_kernel _ZN9rocsparseL29bsrmmnn_small_blockdim_kernelILj64ELj8ELj2EiiffffEEv20rocsparse_direction_T3_S2_llNS_24const_host_device_scalarIT7_EEPKT2_PKS2_PKT4_PKT5_llS5_PT6_ll16rocsparse_order_21rocsparse_index_base_b
		.amdhsa_group_segment_fixed_size 1024
		.amdhsa_private_segment_fixed_size 0
		.amdhsa_kernarg_size 392
		.amdhsa_user_sgpr_count 6
		.amdhsa_user_sgpr_private_segment_buffer 1
		.amdhsa_user_sgpr_dispatch_ptr 0
		.amdhsa_user_sgpr_queue_ptr 0
		.amdhsa_user_sgpr_kernarg_segment_ptr 1
		.amdhsa_user_sgpr_dispatch_id 0
		.amdhsa_user_sgpr_flat_scratch_init 0
		.amdhsa_user_sgpr_private_segment_size 0
		.amdhsa_uses_dynamic_stack 0
		.amdhsa_system_sgpr_private_segment_wavefront_offset 0
		.amdhsa_system_sgpr_workgroup_id_x 1
		.amdhsa_system_sgpr_workgroup_id_y 1
		.amdhsa_system_sgpr_workgroup_id_z 0
		.amdhsa_system_sgpr_workgroup_info 0
		.amdhsa_system_vgpr_workitem_id 0
		.amdhsa_next_free_vgpr 48
		.amdhsa_next_free_sgpr 32
		.amdhsa_reserve_vcc 1
		.amdhsa_reserve_flat_scratch 0
		.amdhsa_float_round_mode_32 0
		.amdhsa_float_round_mode_16_64 0
		.amdhsa_float_denorm_mode_32 3
		.amdhsa_float_denorm_mode_16_64 3
		.amdhsa_dx10_clamp 1
		.amdhsa_ieee_mode 1
		.amdhsa_fp16_overflow 0
		.amdhsa_exception_fp_ieee_invalid_op 0
		.amdhsa_exception_fp_denorm_src 0
		.amdhsa_exception_fp_ieee_div_zero 0
		.amdhsa_exception_fp_ieee_overflow 0
		.amdhsa_exception_fp_ieee_underflow 0
		.amdhsa_exception_fp_ieee_inexact 0
		.amdhsa_exception_int_div_zero 0
	.end_amdhsa_kernel
	.section	.text._ZN9rocsparseL29bsrmmnn_small_blockdim_kernelILj64ELj8ELj2EiiffffEEv20rocsparse_direction_T3_S2_llNS_24const_host_device_scalarIT7_EEPKT2_PKS2_PKT4_PKT5_llS5_PT6_ll16rocsparse_order_21rocsparse_index_base_b,"axG",@progbits,_ZN9rocsparseL29bsrmmnn_small_blockdim_kernelILj64ELj8ELj2EiiffffEEv20rocsparse_direction_T3_S2_llNS_24const_host_device_scalarIT7_EEPKT2_PKS2_PKT4_PKT5_llS5_PT6_ll16rocsparse_order_21rocsparse_index_base_b,comdat
.Lfunc_end0:
	.size	_ZN9rocsparseL29bsrmmnn_small_blockdim_kernelILj64ELj8ELj2EiiffffEEv20rocsparse_direction_T3_S2_llNS_24const_host_device_scalarIT7_EEPKT2_PKS2_PKT4_PKT5_llS5_PT6_ll16rocsparse_order_21rocsparse_index_base_b, .Lfunc_end0-_ZN9rocsparseL29bsrmmnn_small_blockdim_kernelILj64ELj8ELj2EiiffffEEv20rocsparse_direction_T3_S2_llNS_24const_host_device_scalarIT7_EEPKT2_PKS2_PKT4_PKT5_llS5_PT6_ll16rocsparse_order_21rocsparse_index_base_b
                                        ; -- End function
	.set _ZN9rocsparseL29bsrmmnn_small_blockdim_kernelILj64ELj8ELj2EiiffffEEv20rocsparse_direction_T3_S2_llNS_24const_host_device_scalarIT7_EEPKT2_PKS2_PKT4_PKT5_llS5_PT6_ll16rocsparse_order_21rocsparse_index_base_b.num_vgpr, 48
	.set _ZN9rocsparseL29bsrmmnn_small_blockdim_kernelILj64ELj8ELj2EiiffffEEv20rocsparse_direction_T3_S2_llNS_24const_host_device_scalarIT7_EEPKT2_PKS2_PKT4_PKT5_llS5_PT6_ll16rocsparse_order_21rocsparse_index_base_b.num_agpr, 0
	.set _ZN9rocsparseL29bsrmmnn_small_blockdim_kernelILj64ELj8ELj2EiiffffEEv20rocsparse_direction_T3_S2_llNS_24const_host_device_scalarIT7_EEPKT2_PKS2_PKT4_PKT5_llS5_PT6_ll16rocsparse_order_21rocsparse_index_base_b.numbered_sgpr, 32
	.set _ZN9rocsparseL29bsrmmnn_small_blockdim_kernelILj64ELj8ELj2EiiffffEEv20rocsparse_direction_T3_S2_llNS_24const_host_device_scalarIT7_EEPKT2_PKS2_PKT4_PKT5_llS5_PT6_ll16rocsparse_order_21rocsparse_index_base_b.num_named_barrier, 0
	.set _ZN9rocsparseL29bsrmmnn_small_blockdim_kernelILj64ELj8ELj2EiiffffEEv20rocsparse_direction_T3_S2_llNS_24const_host_device_scalarIT7_EEPKT2_PKS2_PKT4_PKT5_llS5_PT6_ll16rocsparse_order_21rocsparse_index_base_b.private_seg_size, 0
	.set _ZN9rocsparseL29bsrmmnn_small_blockdim_kernelILj64ELj8ELj2EiiffffEEv20rocsparse_direction_T3_S2_llNS_24const_host_device_scalarIT7_EEPKT2_PKS2_PKT4_PKT5_llS5_PT6_ll16rocsparse_order_21rocsparse_index_base_b.uses_vcc, 1
	.set _ZN9rocsparseL29bsrmmnn_small_blockdim_kernelILj64ELj8ELj2EiiffffEEv20rocsparse_direction_T3_S2_llNS_24const_host_device_scalarIT7_EEPKT2_PKS2_PKT4_PKT5_llS5_PT6_ll16rocsparse_order_21rocsparse_index_base_b.uses_flat_scratch, 0
	.set _ZN9rocsparseL29bsrmmnn_small_blockdim_kernelILj64ELj8ELj2EiiffffEEv20rocsparse_direction_T3_S2_llNS_24const_host_device_scalarIT7_EEPKT2_PKS2_PKT4_PKT5_llS5_PT6_ll16rocsparse_order_21rocsparse_index_base_b.has_dyn_sized_stack, 0
	.set _ZN9rocsparseL29bsrmmnn_small_blockdim_kernelILj64ELj8ELj2EiiffffEEv20rocsparse_direction_T3_S2_llNS_24const_host_device_scalarIT7_EEPKT2_PKS2_PKT4_PKT5_llS5_PT6_ll16rocsparse_order_21rocsparse_index_base_b.has_recursion, 0
	.set _ZN9rocsparseL29bsrmmnn_small_blockdim_kernelILj64ELj8ELj2EiiffffEEv20rocsparse_direction_T3_S2_llNS_24const_host_device_scalarIT7_EEPKT2_PKS2_PKT4_PKT5_llS5_PT6_ll16rocsparse_order_21rocsparse_index_base_b.has_indirect_call, 0
	.section	.AMDGPU.csdata,"",@progbits
; Kernel info:
; codeLenInByte = 1484
; TotalNumSgprs: 36
; NumVgprs: 48
; ScratchSize: 0
; MemoryBound: 0
; FloatMode: 240
; IeeeMode: 1
; LDSByteSize: 1024 bytes/workgroup (compile time only)
; SGPRBlocks: 4
; VGPRBlocks: 11
; NumSGPRsForWavesPerEU: 36
; NumVGPRsForWavesPerEU: 48
; Occupancy: 5
; WaveLimiterHint : 0
; COMPUTE_PGM_RSRC2:SCRATCH_EN: 0
; COMPUTE_PGM_RSRC2:USER_SGPR: 6
; COMPUTE_PGM_RSRC2:TRAP_HANDLER: 0
; COMPUTE_PGM_RSRC2:TGID_X_EN: 1
; COMPUTE_PGM_RSRC2:TGID_Y_EN: 1
; COMPUTE_PGM_RSRC2:TGID_Z_EN: 0
; COMPUTE_PGM_RSRC2:TIDIG_COMP_CNT: 0
	.section	.text._ZN9rocsparseL29bsrmmnn_small_blockdim_kernelILj64ELj8ELj2EliffffEEv20rocsparse_direction_T3_S2_llNS_24const_host_device_scalarIT7_EEPKT2_PKS2_PKT4_PKT5_llS5_PT6_ll16rocsparse_order_21rocsparse_index_base_b,"axG",@progbits,_ZN9rocsparseL29bsrmmnn_small_blockdim_kernelILj64ELj8ELj2EliffffEEv20rocsparse_direction_T3_S2_llNS_24const_host_device_scalarIT7_EEPKT2_PKS2_PKT4_PKT5_llS5_PT6_ll16rocsparse_order_21rocsparse_index_base_b,comdat
	.globl	_ZN9rocsparseL29bsrmmnn_small_blockdim_kernelILj64ELj8ELj2EliffffEEv20rocsparse_direction_T3_S2_llNS_24const_host_device_scalarIT7_EEPKT2_PKS2_PKT4_PKT5_llS5_PT6_ll16rocsparse_order_21rocsparse_index_base_b ; -- Begin function _ZN9rocsparseL29bsrmmnn_small_blockdim_kernelILj64ELj8ELj2EliffffEEv20rocsparse_direction_T3_S2_llNS_24const_host_device_scalarIT7_EEPKT2_PKS2_PKT4_PKT5_llS5_PT6_ll16rocsparse_order_21rocsparse_index_base_b
	.p2align	8
	.type	_ZN9rocsparseL29bsrmmnn_small_blockdim_kernelILj64ELj8ELj2EliffffEEv20rocsparse_direction_T3_S2_llNS_24const_host_device_scalarIT7_EEPKT2_PKS2_PKT4_PKT5_llS5_PT6_ll16rocsparse_order_21rocsparse_index_base_b,@function
_ZN9rocsparseL29bsrmmnn_small_blockdim_kernelILj64ELj8ELj2EliffffEEv20rocsparse_direction_T3_S2_llNS_24const_host_device_scalarIT7_EEPKT2_PKS2_PKT4_PKT5_llS5_PT6_ll16rocsparse_order_21rocsparse_index_base_b: ; @_ZN9rocsparseL29bsrmmnn_small_blockdim_kernelILj64ELj8ELj2EliffffEEv20rocsparse_direction_T3_S2_llNS_24const_host_device_scalarIT7_EEPKT2_PKS2_PKT4_PKT5_llS5_PT6_ll16rocsparse_order_21rocsparse_index_base_b
; %bb.0:
	s_load_dwordx4 s[16:19], s[4:5], 0x78
	s_load_dwordx2 s[28:29], s[4:5], 0x20
	s_load_dwordx2 s[30:31], s[4:5], 0x58
	s_waitcnt lgkmcnt(0)
	s_bitcmp1_b32 s18, 0
	s_cselect_b64 s[2:3], -1, 0
	s_xor_b64 s[0:1], s[2:3], -1
	s_and_b64 vcc, exec, s[2:3]
	s_cbranch_vccnz .LBB1_2
; %bb.1:
	s_load_dword s28, s[28:29], 0x0
.LBB1_2:
	s_andn2_b64 vcc, exec, s[0:1]
	s_cbranch_vccnz .LBB1_4
; %bb.3:
	s_load_dword s30, s[30:31], 0x0
.LBB1_4:
	s_waitcnt lgkmcnt(0)
	v_cmp_eq_f32_e64 s[0:1], s28, 0
	v_cmp_eq_f32_e64 s[2:3], s30, 1.0
	s_and_b64 s[0:1], s[0:1], s[2:3]
	s_and_b64 vcc, exec, s[0:1]
	s_cbranch_vccnz .LBB1_28
; %bb.5:
	s_load_dword s0, s[4:5], 0x88
	s_load_dwordx4 s[20:23], s[4:5], 0x0
	s_add_u32 s1, s4, 0x88
	s_addc_u32 s3, s5, 0
	v_mov_b32_e32 v5, 0
	s_waitcnt lgkmcnt(0)
	s_cmp_lt_u32 s6, s0
	s_cselect_b32 s2, 12, 18
	s_add_u32 s2, s1, s2
	s_addc_u32 s3, s3, 0
	global_load_ushort v2, v5, s[2:3]
	s_waitcnt vmcnt(0)
	v_mul_lo_u32 v1, s6, v2
	v_add_u32_e32 v1, v1, v0
	v_lshrrev_b32_e32 v4, 4, v1
	v_cmp_gt_i32_e32 vcc, s21, v4
	s_and_saveexec_b64 s[2:3], vcc
	s_cbranch_execz .LBB1_28
; %bb.6:
	v_mul_lo_u32 v2, s0, v2
	s_load_dwordx8 s[8:15], s[4:5], 0x28
	s_load_dwordx4 s[24:27], s[4:5], 0x60
	s_load_dwordx2 s[0:1], s[4:5], 0x48
	v_and_b32_e32 v15, 7, v1
	v_lshrrev_b32_e32 v21, 3, v1
	v_lshrrev_b32_e32 v14, 4, v2
	v_lshl_or_b32 v2, s7, 3, v15
	v_ashrrev_i32_e32 v3, 31, v2
	s_waitcnt lgkmcnt(0)
	v_mul_lo_u32 v11, s0, v3
	v_mul_lo_u32 v12, s1, v2
	v_mad_u64_u32 v[8:9], s[0:1], s0, v2, 0
	v_bfe_u32 v22, v1, 3, 1
	v_lshrrev_b32_e32 v0, 3, v0
	v_mov_b32_e32 v1, 0x300
	v_lshl_or_b32 v16, v0, 5, v1
	v_mul_u32_u24_e32 v18, 0x60, v0
	v_mad_u64_u32 v[0:1], s[0:1], s26, v21, 0
	v_lshlrev_b64 v[6:7], 2, v[2:3]
	v_mov_b32_e32 v10, s25
	v_add_co_u32_e32 v13, vcc, s24, v6
	v_add3_u32 v9, v9, v11, v12
	v_addc_co_u32_e32 v10, vcc, v10, v7, vcc
	v_lshlrev_b64 v[6:7], 2, v[8:9]
	v_mad_u64_u32 v[8:9], s[2:3], s27, v21, v[1:2]
	v_cmp_gt_i32_e64 s[0:1], s22, v2
	v_mul_lo_u32 v9, s27, v2
	v_mov_b32_e32 v1, v8
	v_mul_lo_u32 v8, s26, v3
	v_mad_u64_u32 v[2:3], s[2:3], s26, v2, 0
	v_mov_b32_e32 v12, s15
	v_add_co_u32_e32 v19, vcc, s14, v6
	v_lshlrev_b64 v[0:1], 2, v[0:1]
	v_addc_co_u32_e32 v20, vcc, v12, v7, vcc
	v_add_co_u32_e32 v6, vcc, v13, v0
	v_add3_u32 v3, v3, v8, v9
	v_addc_co_u32_e32 v7, vcc, v10, v1, vcc
	v_lshlrev_b64 v[0:1], 2, v[2:3]
	s_cmp_lg_u32 s16, 1
	s_cselect_b64 s[4:5], -1, 0
	s_cmp_eq_u32 s20, 0
	v_mov_b32_e32 v2, s25
	v_add_co_u32_e32 v0, vcc, s24, v0
	v_addc_co_u32_e32 v1, vcc, v2, v1, vcc
	v_lshlrev_b32_e32 v2, 2, v21
	s_cselect_b64 s[2:3], -1, 0
	v_add_co_u32_e32 v8, vcc, v0, v2
	v_cndmask_b32_e64 v0, 0, 1, s[2:3]
	v_addc_co_u32_e32 v9, vcc, 0, v1, vcc
	v_lshlrev_b32_e32 v0, v0, v22
	v_subrev_co_u32_e32 v21, vcc, s17, v15
	v_lshlrev_b32_e32 v0, 2, v0
	v_mul_u32_u24_e32 v11, 12, v15
	s_and_b64 s[2:3], s[2:3], exec
	v_subb_co_u32_e64 v22, s[2:3], 0, 0, vcc
	v_mov_b32_e32 v1, s13
	v_add_co_u32_e32 v23, vcc, s12, v0
	s_mov_b32 s23, s17
	v_lshl_or_b32 v17, v15, 2, v16
	v_cmp_neq_f32_e64 s[6:7], s30, 0
	s_cselect_b32 s16, 4, 8
	v_addc_co_u32_e32 v24, vcc, 0, v1, vcc
	s_mov_b64 s[12:13], 0
	v_add_u32_e32 v25, v18, v11
	s_branch .LBB1_8
.LBB1_7:                                ;   in Loop: Header=BB1_8 Depth=1
	s_or_b64 exec, exec, s[2:3]
	v_add_u32_e32 v4, v4, v14
	v_cmp_le_i32_e32 vcc, s21, v4
	s_or_b64 s[12:13], vcc, s[12:13]
	s_andn2_b64 exec, exec, s[12:13]
	s_cbranch_execz .LBB1_28
.LBB1_8:                                ; =>This Loop Header: Depth=1
                                        ;     Child Loop BB1_11 Depth 2
	v_lshlrev_b64 v[0:1], 3, v[4:5]
	v_mov_b32_e32 v2, s9
	v_add_co_u32_e32 v0, vcc, s8, v0
	v_addc_co_u32_e32 v1, vcc, v2, v1, vcc
	global_load_dwordx4 v[0:3], v[0:1], off
	v_mov_b32_e32 v26, 0
	s_waitcnt vmcnt(0)
	v_cmp_lt_i64_e32 vcc, v[0:1], v[2:3]
	s_and_saveexec_b64 s[14:15], vcc
	s_cbranch_execz .LBB1_16
; %bb.9:                                ;   in Loop: Header=BB1_8 Depth=1
	v_subrev_co_u32_e32 v2, vcc, s23, v2
	v_subbrev_co_u32_e32 v3, vcc, 0, v3, vcc
	v_subrev_co_u32_e32 v10, vcc, s23, v0
	v_subbrev_co_u32_e32 v11, vcc, 0, v1, vcc
	v_add_co_u32_e32 v12, vcc, v21, v0
	v_addc_co_u32_e32 v13, vcc, v22, v1, vcc
	v_lshlrev_b64 v[0:1], 2, v[12:13]
	v_mov_b32_e32 v26, s11
	v_add_co_u32_e32 v0, vcc, s10, v0
	v_lshlrev_b64 v[12:13], 4, v[12:13]
	v_addc_co_u32_e32 v1, vcc, v26, v1, vcc
	v_add_co_u32_e32 v12, vcc, v23, v12
	v_addc_co_u32_e32 v13, vcc, v24, v13, vcc
	v_mov_b32_e32 v26, 0
	s_mov_b64 s[18:19], 0
	s_branch .LBB1_11
.LBB1_10:                               ;   in Loop: Header=BB1_11 Depth=2
	s_or_b64 exec, exec, s[2:3]
	v_add_co_u32_e32 v10, vcc, 8, v10
	v_addc_co_u32_e32 v11, vcc, 0, v11, vcc
	v_add_co_u32_e32 v0, vcc, 32, v0
	v_addc_co_u32_e32 v1, vcc, 0, v1, vcc
	v_cmp_ge_i64_e64 s[2:3], v[10:11], v[2:3]
	v_add_co_u32_e32 v12, vcc, 0x80, v12
	s_or_b64 s[18:19], s[2:3], s[18:19]
	v_addc_co_u32_e32 v13, vcc, 0, v13, vcc
	s_andn2_b64 exec, exec, s[18:19]
	s_cbranch_execz .LBB1_15
.LBB1_11:                               ;   Parent Loop BB1_8 Depth=1
                                        ; =>  This Inner Loop Header: Depth=2
	v_add_co_u32_e32 v27, vcc, v15, v10
	v_addc_co_u32_e32 v28, vcc, 0, v11, vcc
	v_cmp_lt_i64_e32 vcc, v[27:28], v[2:3]
	v_mov_b32_e32 v29, 0
	v_mov_b32_e32 v27, 0
	;; [unrolled: 1-line block ×3, first 2 shown]
	s_and_saveexec_b64 s[2:3], vcc
	s_cbranch_execz .LBB1_13
; %bb.12:                               ;   in Loop: Header=BB1_11 Depth=2
	global_load_dword v31, v[0:1], off
	v_add_co_u32_e32 v29, vcc, s16, v12
	v_addc_co_u32_e32 v30, vcc, 0, v13, vcc
	global_load_dword v27, v[12:13], off
	global_load_dword v28, v[29:30], off
	s_waitcnt vmcnt(2)
	v_subrev_u32_e32 v29, s17, v31
	v_lshlrev_b32_e32 v29, 1, v29
.LBB1_13:                               ;   in Loop: Header=BB1_11 Depth=2
	s_or_b64 exec, exec, s[2:3]
	ds_write_b32 v17, v29
	s_waitcnt vmcnt(0)
	ds_write2_b32 v25, v27, v28 offset1:1
	s_waitcnt lgkmcnt(0)
	; wave barrier
	s_and_saveexec_b64 s[2:3], s[0:1]
	s_cbranch_execz .LBB1_10
; %bb.14:                               ;   in Loop: Header=BB1_11 Depth=2
	ds_read2_b64 v[27:30], v18 offset1:3
	ds_read2_b64 v[31:34], v18 offset0:6 offset1:9
	ds_read_b128 v[35:38], v16
	ds_read_b128 v[39:42], v16 offset:16
	s_waitcnt lgkmcnt(1)
	v_ashrrev_i32_e32 v44, 31, v35
	v_mov_b32_e32 v43, v35
	v_lshlrev_b64 v[43:44], 2, v[43:44]
	v_add_co_u32_e32 v43, vcc, v19, v43
	v_addc_co_u32_e32 v44, vcc, v20, v44, vcc
	global_load_dwordx2 v[43:44], v[43:44], off
	s_waitcnt vmcnt(0)
	v_fmac_f32_e32 v26, v27, v43
	v_fmac_f32_e32 v26, v28, v44
	v_ashrrev_i32_e32 v44, 31, v36
	v_mov_b32_e32 v43, v36
	v_lshlrev_b64 v[35:36], 2, v[43:44]
	ds_read2_b32 v[27:28], v18 offset0:3 offset1:4
	v_add_co_u32_e32 v35, vcc, v19, v35
	v_addc_co_u32_e32 v36, vcc, v20, v36, vcc
	global_load_dwordx2 v[35:36], v[35:36], off
	s_waitcnt vmcnt(0) lgkmcnt(0)
	v_fmac_f32_e32 v26, v27, v35
	v_fmac_f32_e32 v26, v28, v36
	v_ashrrev_i32_e32 v28, 31, v37
	v_mov_b32_e32 v27, v37
	v_lshlrev_b64 v[27:28], 2, v[27:28]
	v_add_co_u32_e32 v27, vcc, v19, v27
	v_addc_co_u32_e32 v28, vcc, v20, v28, vcc
	global_load_dwordx2 v[27:28], v[27:28], off
	s_waitcnt vmcnt(0)
	v_fmac_f32_e32 v26, v29, v27
	v_fmac_f32_e32 v26, v30, v28
	v_ashrrev_i32_e32 v30, 31, v38
	v_mov_b32_e32 v29, v38
	v_lshlrev_b64 v[29:30], 2, v[29:30]
	ds_read2_b32 v[27:28], v18 offset0:9 offset1:10
	v_add_co_u32_e32 v29, vcc, v19, v29
	v_addc_co_u32_e32 v30, vcc, v20, v30, vcc
	global_load_dwordx2 v[29:30], v[29:30], off
	s_waitcnt vmcnt(0) lgkmcnt(0)
	v_fmac_f32_e32 v26, v27, v29
	v_fmac_f32_e32 v26, v28, v30
	v_ashrrev_i32_e32 v28, 31, v39
	v_mov_b32_e32 v27, v39
	v_lshlrev_b64 v[27:28], 2, v[27:28]
	v_ashrrev_i32_e32 v30, 31, v40
	v_add_co_u32_e32 v27, vcc, v19, v27
	v_addc_co_u32_e32 v28, vcc, v20, v28, vcc
	global_load_dwordx2 v[27:28], v[27:28], off
	v_mov_b32_e32 v29, v40
	v_lshlrev_b64 v[29:30], 2, v[29:30]
	v_add_co_u32_e32 v29, vcc, v19, v29
	v_addc_co_u32_e32 v30, vcc, v20, v30, vcc
	global_load_dwordx2 v[29:30], v[29:30], off
	s_waitcnt vmcnt(1)
	v_fmac_f32_e32 v26, v31, v27
	v_fmac_f32_e32 v26, v32, v28
	ds_read2_b32 v[27:28], v18 offset0:15 offset1:16
	s_waitcnt vmcnt(0) lgkmcnt(0)
	v_fmac_f32_e32 v26, v27, v29
	v_fmac_f32_e32 v26, v28, v30
	v_ashrrev_i32_e32 v28, 31, v41
	v_mov_b32_e32 v27, v41
	v_lshlrev_b64 v[27:28], 2, v[27:28]
	v_ashrrev_i32_e32 v30, 31, v42
	v_add_co_u32_e32 v27, vcc, v19, v27
	v_addc_co_u32_e32 v28, vcc, v20, v28, vcc
	global_load_dwordx2 v[27:28], v[27:28], off
	v_mov_b32_e32 v29, v42
	v_lshlrev_b64 v[29:30], 2, v[29:30]
	v_add_co_u32_e32 v29, vcc, v19, v29
	v_addc_co_u32_e32 v30, vcc, v20, v30, vcc
	global_load_dwordx2 v[29:30], v[29:30], off
	s_waitcnt vmcnt(1)
	v_fmac_f32_e32 v26, v33, v27
	v_fmac_f32_e32 v26, v34, v28
	ds_read2_b32 v[27:28], v18 offset0:21 offset1:22
	s_waitcnt vmcnt(0) lgkmcnt(0)
	v_fmac_f32_e32 v26, v27, v29
	v_fmac_f32_e32 v26, v28, v30
	s_branch .LBB1_10
.LBB1_15:                               ;   in Loop: Header=BB1_8 Depth=1
	s_or_b64 exec, exec, s[18:19]
.LBB1_16:                               ;   in Loop: Header=BB1_8 Depth=1
	s_or_b64 exec, exec, s[14:15]
	s_and_saveexec_b64 s[2:3], s[0:1]
	s_cbranch_execz .LBB1_7
; %bb.17:                               ;   in Loop: Header=BB1_8 Depth=1
	v_mul_f32_e32 v0, s28, v26
	s_mov_b64 s[14:15], -1
	s_and_b64 vcc, exec, s[6:7]
	s_cbranch_vccz .LBB1_23
; %bb.18:                               ;   in Loop: Header=BB1_8 Depth=1
	s_and_b64 vcc, exec, s[4:5]
	s_cbranch_vccz .LBB1_20
; %bb.19:                               ;   in Loop: Header=BB1_8 Depth=1
	global_load_dword v1, v[6:7], off
	s_mov_b64 s[14:15], 0
	s_waitcnt vmcnt(0)
	v_fma_f32 v1, s30, v1, v0
	global_store_dword v[6:7], v1, off
.LBB1_20:                               ;   in Loop: Header=BB1_8 Depth=1
	s_andn2_b64 vcc, exec, s[14:15]
	s_cbranch_vccnz .LBB1_22
; %bb.21:                               ;   in Loop: Header=BB1_8 Depth=1
	global_load_dword v1, v[8:9], off
	s_waitcnt vmcnt(0)
	v_fma_f32 v1, s30, v1, v0
	global_store_dword v[8:9], v1, off
.LBB1_22:                               ;   in Loop: Header=BB1_8 Depth=1
	s_mov_b64 s[14:15], 0
.LBB1_23:                               ;   in Loop: Header=BB1_8 Depth=1
	s_andn2_b64 vcc, exec, s[14:15]
	s_cbranch_vccnz .LBB1_7
; %bb.24:                               ;   in Loop: Header=BB1_8 Depth=1
	s_mov_b64 s[14:15], -1
	s_and_b64 vcc, exec, s[4:5]
	s_cbranch_vccz .LBB1_26
; %bb.25:                               ;   in Loop: Header=BB1_8 Depth=1
	global_store_dword v[6:7], v0, off
	s_mov_b64 s[14:15], 0
.LBB1_26:                               ;   in Loop: Header=BB1_8 Depth=1
	s_andn2_b64 vcc, exec, s[14:15]
	s_cbranch_vccnz .LBB1_7
; %bb.27:                               ;   in Loop: Header=BB1_8 Depth=1
	global_store_dword v[8:9], v0, off
	s_branch .LBB1_7
.LBB1_28:
	s_endpgm
	.section	.rodata,"a",@progbits
	.p2align	6, 0x0
	.amdhsa_kernel _ZN9rocsparseL29bsrmmnn_small_blockdim_kernelILj64ELj8ELj2EliffffEEv20rocsparse_direction_T3_S2_llNS_24const_host_device_scalarIT7_EEPKT2_PKS2_PKT4_PKT5_llS5_PT6_ll16rocsparse_order_21rocsparse_index_base_b
		.amdhsa_group_segment_fixed_size 1024
		.amdhsa_private_segment_fixed_size 0
		.amdhsa_kernarg_size 392
		.amdhsa_user_sgpr_count 6
		.amdhsa_user_sgpr_private_segment_buffer 1
		.amdhsa_user_sgpr_dispatch_ptr 0
		.amdhsa_user_sgpr_queue_ptr 0
		.amdhsa_user_sgpr_kernarg_segment_ptr 1
		.amdhsa_user_sgpr_dispatch_id 0
		.amdhsa_user_sgpr_flat_scratch_init 0
		.amdhsa_user_sgpr_private_segment_size 0
		.amdhsa_uses_dynamic_stack 0
		.amdhsa_system_sgpr_private_segment_wavefront_offset 0
		.amdhsa_system_sgpr_workgroup_id_x 1
		.amdhsa_system_sgpr_workgroup_id_y 1
		.amdhsa_system_sgpr_workgroup_id_z 0
		.amdhsa_system_sgpr_workgroup_info 0
		.amdhsa_system_vgpr_workitem_id 0
		.amdhsa_next_free_vgpr 45
		.amdhsa_next_free_sgpr 32
		.amdhsa_reserve_vcc 1
		.amdhsa_reserve_flat_scratch 0
		.amdhsa_float_round_mode_32 0
		.amdhsa_float_round_mode_16_64 0
		.amdhsa_float_denorm_mode_32 3
		.amdhsa_float_denorm_mode_16_64 3
		.amdhsa_dx10_clamp 1
		.amdhsa_ieee_mode 1
		.amdhsa_fp16_overflow 0
		.amdhsa_exception_fp_ieee_invalid_op 0
		.amdhsa_exception_fp_denorm_src 0
		.amdhsa_exception_fp_ieee_div_zero 0
		.amdhsa_exception_fp_ieee_overflow 0
		.amdhsa_exception_fp_ieee_underflow 0
		.amdhsa_exception_fp_ieee_inexact 0
		.amdhsa_exception_int_div_zero 0
	.end_amdhsa_kernel
	.section	.text._ZN9rocsparseL29bsrmmnn_small_blockdim_kernelILj64ELj8ELj2EliffffEEv20rocsparse_direction_T3_S2_llNS_24const_host_device_scalarIT7_EEPKT2_PKS2_PKT4_PKT5_llS5_PT6_ll16rocsparse_order_21rocsparse_index_base_b,"axG",@progbits,_ZN9rocsparseL29bsrmmnn_small_blockdim_kernelILj64ELj8ELj2EliffffEEv20rocsparse_direction_T3_S2_llNS_24const_host_device_scalarIT7_EEPKT2_PKS2_PKT4_PKT5_llS5_PT6_ll16rocsparse_order_21rocsparse_index_base_b,comdat
.Lfunc_end1:
	.size	_ZN9rocsparseL29bsrmmnn_small_blockdim_kernelILj64ELj8ELj2EliffffEEv20rocsparse_direction_T3_S2_llNS_24const_host_device_scalarIT7_EEPKT2_PKS2_PKT4_PKT5_llS5_PT6_ll16rocsparse_order_21rocsparse_index_base_b, .Lfunc_end1-_ZN9rocsparseL29bsrmmnn_small_blockdim_kernelILj64ELj8ELj2EliffffEEv20rocsparse_direction_T3_S2_llNS_24const_host_device_scalarIT7_EEPKT2_PKS2_PKT4_PKT5_llS5_PT6_ll16rocsparse_order_21rocsparse_index_base_b
                                        ; -- End function
	.set _ZN9rocsparseL29bsrmmnn_small_blockdim_kernelILj64ELj8ELj2EliffffEEv20rocsparse_direction_T3_S2_llNS_24const_host_device_scalarIT7_EEPKT2_PKS2_PKT4_PKT5_llS5_PT6_ll16rocsparse_order_21rocsparse_index_base_b.num_vgpr, 45
	.set _ZN9rocsparseL29bsrmmnn_small_blockdim_kernelILj64ELj8ELj2EliffffEEv20rocsparse_direction_T3_S2_llNS_24const_host_device_scalarIT7_EEPKT2_PKS2_PKT4_PKT5_llS5_PT6_ll16rocsparse_order_21rocsparse_index_base_b.num_agpr, 0
	.set _ZN9rocsparseL29bsrmmnn_small_blockdim_kernelILj64ELj8ELj2EliffffEEv20rocsparse_direction_T3_S2_llNS_24const_host_device_scalarIT7_EEPKT2_PKS2_PKT4_PKT5_llS5_PT6_ll16rocsparse_order_21rocsparse_index_base_b.numbered_sgpr, 32
	.set _ZN9rocsparseL29bsrmmnn_small_blockdim_kernelILj64ELj8ELj2EliffffEEv20rocsparse_direction_T3_S2_llNS_24const_host_device_scalarIT7_EEPKT2_PKS2_PKT4_PKT5_llS5_PT6_ll16rocsparse_order_21rocsparse_index_base_b.num_named_barrier, 0
	.set _ZN9rocsparseL29bsrmmnn_small_blockdim_kernelILj64ELj8ELj2EliffffEEv20rocsparse_direction_T3_S2_llNS_24const_host_device_scalarIT7_EEPKT2_PKS2_PKT4_PKT5_llS5_PT6_ll16rocsparse_order_21rocsparse_index_base_b.private_seg_size, 0
	.set _ZN9rocsparseL29bsrmmnn_small_blockdim_kernelILj64ELj8ELj2EliffffEEv20rocsparse_direction_T3_S2_llNS_24const_host_device_scalarIT7_EEPKT2_PKS2_PKT4_PKT5_llS5_PT6_ll16rocsparse_order_21rocsparse_index_base_b.uses_vcc, 1
	.set _ZN9rocsparseL29bsrmmnn_small_blockdim_kernelILj64ELj8ELj2EliffffEEv20rocsparse_direction_T3_S2_llNS_24const_host_device_scalarIT7_EEPKT2_PKS2_PKT4_PKT5_llS5_PT6_ll16rocsparse_order_21rocsparse_index_base_b.uses_flat_scratch, 0
	.set _ZN9rocsparseL29bsrmmnn_small_blockdim_kernelILj64ELj8ELj2EliffffEEv20rocsparse_direction_T3_S2_llNS_24const_host_device_scalarIT7_EEPKT2_PKS2_PKT4_PKT5_llS5_PT6_ll16rocsparse_order_21rocsparse_index_base_b.has_dyn_sized_stack, 0
	.set _ZN9rocsparseL29bsrmmnn_small_blockdim_kernelILj64ELj8ELj2EliffffEEv20rocsparse_direction_T3_S2_llNS_24const_host_device_scalarIT7_EEPKT2_PKS2_PKT4_PKT5_llS5_PT6_ll16rocsparse_order_21rocsparse_index_base_b.has_recursion, 0
	.set _ZN9rocsparseL29bsrmmnn_small_blockdim_kernelILj64ELj8ELj2EliffffEEv20rocsparse_direction_T3_S2_llNS_24const_host_device_scalarIT7_EEPKT2_PKS2_PKT4_PKT5_llS5_PT6_ll16rocsparse_order_21rocsparse_index_base_b.has_indirect_call, 0
	.section	.AMDGPU.csdata,"",@progbits
; Kernel info:
; codeLenInByte = 1472
; TotalNumSgprs: 36
; NumVgprs: 45
; ScratchSize: 0
; MemoryBound: 0
; FloatMode: 240
; IeeeMode: 1
; LDSByteSize: 1024 bytes/workgroup (compile time only)
; SGPRBlocks: 4
; VGPRBlocks: 11
; NumSGPRsForWavesPerEU: 36
; NumVGPRsForWavesPerEU: 45
; Occupancy: 5
; WaveLimiterHint : 0
; COMPUTE_PGM_RSRC2:SCRATCH_EN: 0
; COMPUTE_PGM_RSRC2:USER_SGPR: 6
; COMPUTE_PGM_RSRC2:TRAP_HANDLER: 0
; COMPUTE_PGM_RSRC2:TGID_X_EN: 1
; COMPUTE_PGM_RSRC2:TGID_Y_EN: 1
; COMPUTE_PGM_RSRC2:TGID_Z_EN: 0
; COMPUTE_PGM_RSRC2:TIDIG_COMP_CNT: 0
	.section	.text._ZN9rocsparseL29bsrmmnn_small_blockdim_kernelILj64ELj8ELj2EllffffEEv20rocsparse_direction_T3_S2_llNS_24const_host_device_scalarIT7_EEPKT2_PKS2_PKT4_PKT5_llS5_PT6_ll16rocsparse_order_21rocsparse_index_base_b,"axG",@progbits,_ZN9rocsparseL29bsrmmnn_small_blockdim_kernelILj64ELj8ELj2EllffffEEv20rocsparse_direction_T3_S2_llNS_24const_host_device_scalarIT7_EEPKT2_PKS2_PKT4_PKT5_llS5_PT6_ll16rocsparse_order_21rocsparse_index_base_b,comdat
	.globl	_ZN9rocsparseL29bsrmmnn_small_blockdim_kernelILj64ELj8ELj2EllffffEEv20rocsparse_direction_T3_S2_llNS_24const_host_device_scalarIT7_EEPKT2_PKS2_PKT4_PKT5_llS5_PT6_ll16rocsparse_order_21rocsparse_index_base_b ; -- Begin function _ZN9rocsparseL29bsrmmnn_small_blockdim_kernelILj64ELj8ELj2EllffffEEv20rocsparse_direction_T3_S2_llNS_24const_host_device_scalarIT7_EEPKT2_PKS2_PKT4_PKT5_llS5_PT6_ll16rocsparse_order_21rocsparse_index_base_b
	.p2align	8
	.type	_ZN9rocsparseL29bsrmmnn_small_blockdim_kernelILj64ELj8ELj2EllffffEEv20rocsparse_direction_T3_S2_llNS_24const_host_device_scalarIT7_EEPKT2_PKS2_PKT4_PKT5_llS5_PT6_ll16rocsparse_order_21rocsparse_index_base_b,@function
_ZN9rocsparseL29bsrmmnn_small_blockdim_kernelILj64ELj8ELj2EllffffEEv20rocsparse_direction_T3_S2_llNS_24const_host_device_scalarIT7_EEPKT2_PKS2_PKT4_PKT5_llS5_PT6_ll16rocsparse_order_21rocsparse_index_base_b: ; @_ZN9rocsparseL29bsrmmnn_small_blockdim_kernelILj64ELj8ELj2EllffffEEv20rocsparse_direction_T3_S2_llNS_24const_host_device_scalarIT7_EEPKT2_PKS2_PKT4_PKT5_llS5_PT6_ll16rocsparse_order_21rocsparse_index_base_b
; %bb.0:
	s_load_dwordx4 s[20:23], s[4:5], 0x80
	s_load_dwordx2 s[24:25], s[4:5], 0x28
	s_load_dwordx2 s[26:27], s[4:5], 0x60
	s_waitcnt lgkmcnt(0)
	s_bitcmp1_b32 s22, 0
	s_cselect_b64 s[2:3], -1, 0
	s_xor_b64 s[0:1], s[2:3], -1
	s_and_b64 vcc, exec, s[2:3]
	s_cbranch_vccnz .LBB2_2
; %bb.1:
	s_load_dword s24, s[24:25], 0x0
.LBB2_2:
	s_andn2_b64 vcc, exec, s[0:1]
	s_cbranch_vccnz .LBB2_4
; %bb.3:
	s_load_dword s26, s[26:27], 0x0
.LBB2_4:
	s_waitcnt lgkmcnt(0)
	v_cmp_eq_f32_e64 s[0:1], s24, 0
	v_cmp_eq_f32_e64 s[2:3], s26, 1.0
	s_and_b64 s[0:1], s[0:1], s[2:3]
	s_and_b64 vcc, exec, s[0:1]
	s_cbranch_vccnz .LBB2_28
; %bb.5:
	s_load_dword s22, s[4:5], 0x90
	s_load_dwordx4 s[16:19], s[4:5], 0x8
	s_add_u32 s0, s4, 0x90
	s_addc_u32 s1, s5, 0
	v_mov_b32_e32 v5, 0
	s_waitcnt lgkmcnt(0)
	s_cmp_lt_u32 s6, s22
	s_cselect_b32 s2, 12, 18
	s_add_u32 s0, s0, s2
	s_addc_u32 s1, s1, 0
	global_load_ushort v2, v5, s[0:1]
	s_waitcnt vmcnt(0)
	v_mul_lo_u32 v1, s6, v2
	v_add_u32_e32 v1, v1, v0
	v_lshrrev_b32_e32 v4, 4, v1
	v_cmp_gt_i64_e32 vcc, s[16:17], v[4:5]
	s_and_saveexec_b64 s[0:1], vcc
	s_cbranch_execz .LBB2_28
; %bb.6:
	s_load_dwordx2 s[28:29], s[4:5], 0x50
	s_load_dwordx4 s[0:3], s[4:5], 0x68
	v_and_b32_e32 v16, 7, v1
	v_lshl_or_b32 v10, s7, 3, v16
	v_mul_lo_u32 v6, s22, v2
	s_waitcnt lgkmcnt(0)
	v_mad_u64_u32 v[12:13], s[6:7], s28, v10, 0
	v_lshrrev_b32_e32 v9, 3, v1
	s_load_dwordx8 s[8:15], s[4:5], 0x30
	v_mov_b32_e32 v2, v13
	v_mad_u64_u32 v[2:3], s[6:7], s29, v10, v[2:3]
	s_load_dword s6, s[4:5], 0x0
	v_lshrrev_b32_e32 v17, 4, v6
	v_mad_u64_u32 v[6:7], s[4:5], v9, s2, 0
	v_mov_b32_e32 v11, v5
	v_lshrrev_b32_e32 v15, 3, v0
	v_mov_b32_e32 v0, v7
	v_mov_b32_e32 v13, v2
	v_lshlrev_b64 v[2:3], 2, v[10:11]
	v_mad_u64_u32 v[0:1], s[4:5], v9, s3, v[0:1]
	v_mov_b32_e32 v8, s1
	v_add_co_u32_e32 v14, vcc, s0, v2
	v_addc_co_u32_e32 v8, vcc, v8, v3, vcc
	v_mad_u64_u32 v[2:3], s[4:5], s2, v10, 0
	v_mov_b32_e32 v7, v0
	v_lshlrev_b64 v[0:1], 2, v[6:7]
	v_lshlrev_b32_e32 v9, 2, v9
	v_add_co_u32_e32 v6, vcc, v14, v0
	v_mov_b32_e32 v0, v3
	v_addc_co_u32_e32 v7, vcc, v8, v1, vcc
	v_mad_u64_u32 v[0:1], s[2:3], s3, v10, v[0:1]
	v_and_b32_e32 v21, 4, v9
	s_waitcnt lgkmcnt(0)
	v_mov_b32_e32 v18, s13
	v_add_co_u32_e32 v14, vcc, s12, v21
	v_addc_co_u32_e32 v22, vcc, 0, v18, vcc
	v_mov_b32_e32 v1, 0x300
	v_mov_b32_e32 v3, v0
	v_mov_b32_e32 v0, s1
	v_add_co_u32_e32 v8, vcc, s0, v9
	v_lshl_add_u32 v18, v15, 6, v1
	v_addc_co_u32_e32 v9, vcc, 0, v0, vcc
	v_lshlrev_b64 v[0:1], 2, v[2:3]
	s_cmp_lg_u32 s20, 1
	v_add_co_u32_e32 v8, vcc, v8, v0
	v_addc_co_u32_e32 v9, vcc, v9, v1, vcc
	v_add_co_u32_e32 v0, vcc, v14, v21
	s_cselect_b64 s[4:5], -1, 0
	s_cmp_eq_u32 s6, 0
	v_addc_co_u32_e32 v1, vcc, 0, v22, vcc
	s_cselect_b64 vcc, -1, 0
	v_cndmask_b32_e32 v21, v22, v1, vcc
	v_cndmask_b32_e32 v22, v14, v0, vcc
	v_lshlrev_b64 v[0:1], 2, v[12:13]
	s_and_b64 s[2:3], vcc, exec
	v_mov_b32_e32 v3, s15
	v_add_co_u32_e32 v23, vcc, s14, v0
	v_addc_co_u32_e32 v24, vcc, v3, v1, vcc
	v_mul_u32_u24_e32 v20, 0x60, v15
	v_mul_u32_u24_e32 v2, 12, v16
	v_cmp_gt_i64_e64 s[0:1], s[18:19], v[10:11]
	v_subrev_co_u32_e32 v25, vcc, s21, v16
	s_mov_b32 s22, s21
	v_lshl_or_b32 v19, v16, 3, v18
	v_cmp_neq_f32_e64 s[6:7], s26, 0
	s_cselect_b32 s20, 4, 8
	v_subb_co_u32_e64 v26, s[2:3], 0, 0, vcc
	s_mov_b64 s[12:13], 0
	v_add_u32_e32 v27, v20, v2
	s_branch .LBB2_8
.LBB2_7:                                ;   in Loop: Header=BB2_8 Depth=1
	s_or_b64 exec, exec, s[2:3]
	v_add_co_u32_e32 v4, vcc, v4, v17
	v_addc_co_u32_e32 v5, vcc, 0, v5, vcc
	v_cmp_le_i64_e32 vcc, s[16:17], v[4:5]
	s_or_b64 s[12:13], vcc, s[12:13]
	s_andn2_b64 exec, exec, s[12:13]
	s_cbranch_execz .LBB2_28
.LBB2_8:                                ; =>This Loop Header: Depth=1
                                        ;     Child Loop BB2_11 Depth 2
	v_lshlrev_b64 v[0:1], 3, v[4:5]
	v_mov_b32_e32 v2, s9
	v_add_co_u32_e32 v0, vcc, s8, v0
	v_addc_co_u32_e32 v1, vcc, v2, v1, vcc
	global_load_dwordx4 v[0:3], v[0:1], off
	v_mov_b32_e32 v28, 0
	s_waitcnt vmcnt(0)
	v_cmp_lt_i64_e32 vcc, v[0:1], v[2:3]
	s_and_saveexec_b64 s[14:15], vcc
	s_cbranch_execz .LBB2_16
; %bb.9:                                ;   in Loop: Header=BB2_8 Depth=1
	v_subrev_co_u32_e32 v2, vcc, s22, v2
	v_subbrev_co_u32_e32 v3, vcc, 0, v3, vcc
	v_subrev_co_u32_e32 v10, vcc, s22, v0
	v_subbrev_co_u32_e32 v11, vcc, 0, v1, vcc
	v_add_co_u32_e32 v12, vcc, v25, v0
	v_addc_co_u32_e32 v13, vcc, v26, v1, vcc
	v_lshlrev_b64 v[0:1], 3, v[12:13]
	v_mov_b32_e32 v14, s11
	v_add_co_u32_e32 v0, vcc, s10, v0
	v_lshlrev_b64 v[12:13], 4, v[12:13]
	v_addc_co_u32_e32 v1, vcc, v14, v1, vcc
	v_add_co_u32_e32 v12, vcc, v22, v12
	v_addc_co_u32_e32 v13, vcc, v21, v13, vcc
	v_mov_b32_e32 v28, 0
	s_mov_b64 s[18:19], 0
	s_branch .LBB2_11
.LBB2_10:                               ;   in Loop: Header=BB2_11 Depth=2
	s_or_b64 exec, exec, s[2:3]
	v_add_co_u32_e32 v10, vcc, 8, v10
	v_addc_co_u32_e32 v11, vcc, 0, v11, vcc
	v_add_co_u32_e32 v0, vcc, 64, v0
	v_addc_co_u32_e32 v1, vcc, 0, v1, vcc
	v_cmp_ge_i64_e64 s[2:3], v[10:11], v[2:3]
	v_add_co_u32_e32 v12, vcc, 0x80, v12
	s_or_b64 s[18:19], s[2:3], s[18:19]
	v_addc_co_u32_e32 v13, vcc, 0, v13, vcc
	s_andn2_b64 exec, exec, s[18:19]
	s_cbranch_execz .LBB2_15
.LBB2_11:                               ;   Parent Loop BB2_8 Depth=1
                                        ; =>  This Inner Loop Header: Depth=2
	v_add_co_u32_e32 v14, vcc, v16, v10
	v_addc_co_u32_e32 v15, vcc, 0, v11, vcc
	v_cmp_lt_i64_e32 vcc, v[14:15], v[2:3]
	v_mov_b32_e32 v14, 0
	v_mov_b32_e32 v15, 0
	;; [unrolled: 1-line block ×4, first 2 shown]
	s_and_saveexec_b64 s[2:3], vcc
	s_cbranch_execz .LBB2_13
; %bb.12:                               ;   in Loop: Header=BB2_11 Depth=2
	global_load_dwordx2 v[14:15], v[0:1], off
	v_add_co_u32_e32 v31, vcc, s20, v12
	v_addc_co_u32_e32 v32, vcc, 0, v13, vcc
	global_load_dword v29, v[12:13], off
	global_load_dword v30, v[31:32], off
	s_waitcnt vmcnt(2)
	v_subrev_co_u32_e32 v14, vcc, s22, v14
	v_subbrev_co_u32_e32 v15, vcc, 0, v15, vcc
	v_lshlrev_b64 v[14:15], 1, v[14:15]
.LBB2_13:                               ;   in Loop: Header=BB2_11 Depth=2
	s_or_b64 exec, exec, s[2:3]
	ds_write_b64 v19, v[14:15]
	s_waitcnt vmcnt(0)
	ds_write2_b32 v27, v29, v30 offset1:1
	s_waitcnt lgkmcnt(0)
	; wave barrier
	s_and_saveexec_b64 s[2:3], s[0:1]
	s_cbranch_execz .LBB2_10
; %bb.14:                               ;   in Loop: Header=BB2_11 Depth=2
	ds_read_b128 v[29:32], v18
	ds_read_b128 v[33:36], v18 offset:16
	ds_read_b128 v[37:40], v18 offset:32
	;; [unrolled: 1-line block ×3, first 2 shown]
	s_waitcnt lgkmcnt(3)
	v_lshlrev_b64 v[14:15], 2, v[29:30]
	v_lshlrev_b64 v[29:30], 2, v[31:32]
	v_add_co_u32_e32 v14, vcc, v23, v14
	v_addc_co_u32_e32 v15, vcc, v24, v15, vcc
	v_add_co_u32_e32 v29, vcc, v23, v29
	s_waitcnt lgkmcnt(2)
	v_lshlrev_b64 v[31:32], 2, v[33:34]
	v_addc_co_u32_e32 v30, vcc, v24, v30, vcc
	v_add_co_u32_e32 v31, vcc, v23, v31
	v_lshlrev_b64 v[33:34], 2, v[35:36]
	v_addc_co_u32_e32 v32, vcc, v24, v32, vcc
	v_add_co_u32_e32 v33, vcc, v23, v33
	v_addc_co_u32_e32 v34, vcc, v24, v34, vcc
	global_load_dwordx2 v[35:36], v[14:15], off
	global_load_dwordx2 v[45:46], v[29:30], off
	;; [unrolled: 1-line block ×4, first 2 shown]
	s_waitcnt lgkmcnt(1)
	v_lshlrev_b64 v[14:15], 2, v[37:38]
	v_lshlrev_b64 v[29:30], 2, v[39:40]
	v_add_co_u32_e32 v14, vcc, v23, v14
	v_addc_co_u32_e32 v15, vcc, v24, v15, vcc
	v_add_co_u32_e32 v29, vcc, v23, v29
	s_waitcnt lgkmcnt(0)
	v_lshlrev_b64 v[31:32], 2, v[41:42]
	v_addc_co_u32_e32 v30, vcc, v24, v30, vcc
	v_add_co_u32_e32 v31, vcc, v23, v31
	v_addc_co_u32_e32 v32, vcc, v24, v32, vcc
	global_load_dwordx2 v[37:38], v[14:15], off
	global_load_dwordx2 v[39:40], v[29:30], off
	;; [unrolled: 1-line block ×3, first 2 shown]
	v_lshlrev_b64 v[14:15], 2, v[43:44]
	v_add_co_u32_e32 v14, vcc, v23, v14
	v_addc_co_u32_e32 v15, vcc, v24, v15, vcc
	global_load_dwordx2 v[14:15], v[14:15], off
	ds_read2_b64 v[29:32], v20 offset1:3
	ds_read2_b32 v[33:34], v20 offset0:3 offset1:4
	ds_read2_b32 v[43:44], v20 offset0:9 offset1:10
	;; [unrolled: 1-line block ×4, first 2 shown]
	s_waitcnt vmcnt(7) lgkmcnt(4)
	v_fmac_f32_e32 v28, v29, v35
	v_fmac_f32_e32 v28, v30, v36
	s_waitcnt vmcnt(6) lgkmcnt(3)
	v_fmac_f32_e32 v28, v33, v45
	v_fmac_f32_e32 v28, v34, v46
	ds_read2_b64 v[33:36], v20 offset0:6 offset1:9
	s_waitcnt vmcnt(5)
	v_fmac_f32_e32 v28, v31, v47
	v_fmac_f32_e32 v28, v32, v48
	s_waitcnt vmcnt(4) lgkmcnt(3)
	v_fmac_f32_e32 v28, v43, v49
	v_fmac_f32_e32 v28, v44, v50
	s_waitcnt vmcnt(3) lgkmcnt(0)
	v_fmac_f32_e32 v28, v33, v37
	v_fmac_f32_e32 v28, v34, v38
	s_waitcnt vmcnt(2)
	v_fmac_f32_e32 v28, v51, v39
	v_fmac_f32_e32 v28, v52, v40
	s_waitcnt vmcnt(1)
	;; [unrolled: 3-line block ×3, first 2 shown]
	v_fmac_f32_e32 v28, v53, v14
	v_fmac_f32_e32 v28, v54, v15
	s_branch .LBB2_10
.LBB2_15:                               ;   in Loop: Header=BB2_8 Depth=1
	s_or_b64 exec, exec, s[18:19]
.LBB2_16:                               ;   in Loop: Header=BB2_8 Depth=1
	s_or_b64 exec, exec, s[14:15]
	s_and_saveexec_b64 s[2:3], s[0:1]
	s_cbranch_execz .LBB2_7
; %bb.17:                               ;   in Loop: Header=BB2_8 Depth=1
	v_mul_f32_e32 v0, s24, v28
	s_mov_b64 s[14:15], -1
	s_and_b64 vcc, exec, s[6:7]
	s_cbranch_vccz .LBB2_23
; %bb.18:                               ;   in Loop: Header=BB2_8 Depth=1
	s_and_b64 vcc, exec, s[4:5]
	s_cbranch_vccz .LBB2_20
; %bb.19:                               ;   in Loop: Header=BB2_8 Depth=1
	global_load_dword v1, v[6:7], off
	s_mov_b64 s[14:15], 0
	s_waitcnt vmcnt(0)
	v_fma_f32 v1, s26, v1, v0
	global_store_dword v[6:7], v1, off
.LBB2_20:                               ;   in Loop: Header=BB2_8 Depth=1
	s_andn2_b64 vcc, exec, s[14:15]
	s_cbranch_vccnz .LBB2_22
; %bb.21:                               ;   in Loop: Header=BB2_8 Depth=1
	global_load_dword v1, v[8:9], off
	s_waitcnt vmcnt(0)
	v_fma_f32 v1, s26, v1, v0
	global_store_dword v[8:9], v1, off
.LBB2_22:                               ;   in Loop: Header=BB2_8 Depth=1
	s_mov_b64 s[14:15], 0
.LBB2_23:                               ;   in Loop: Header=BB2_8 Depth=1
	s_andn2_b64 vcc, exec, s[14:15]
	s_cbranch_vccnz .LBB2_7
; %bb.24:                               ;   in Loop: Header=BB2_8 Depth=1
	s_mov_b64 s[14:15], -1
	s_and_b64 vcc, exec, s[4:5]
	s_cbranch_vccz .LBB2_26
; %bb.25:                               ;   in Loop: Header=BB2_8 Depth=1
	global_store_dword v[6:7], v0, off
	s_mov_b64 s[14:15], 0
.LBB2_26:                               ;   in Loop: Header=BB2_8 Depth=1
	s_andn2_b64 vcc, exec, s[14:15]
	s_cbranch_vccnz .LBB2_7
; %bb.27:                               ;   in Loop: Header=BB2_8 Depth=1
	global_store_dword v[8:9], v0, off
	s_branch .LBB2_7
.LBB2_28:
	s_endpgm
	.section	.rodata,"a",@progbits
	.p2align	6, 0x0
	.amdhsa_kernel _ZN9rocsparseL29bsrmmnn_small_blockdim_kernelILj64ELj8ELj2EllffffEEv20rocsparse_direction_T3_S2_llNS_24const_host_device_scalarIT7_EEPKT2_PKS2_PKT4_PKT5_llS5_PT6_ll16rocsparse_order_21rocsparse_index_base_b
		.amdhsa_group_segment_fixed_size 1280
		.amdhsa_private_segment_fixed_size 0
		.amdhsa_kernarg_size 400
		.amdhsa_user_sgpr_count 6
		.amdhsa_user_sgpr_private_segment_buffer 1
		.amdhsa_user_sgpr_dispatch_ptr 0
		.amdhsa_user_sgpr_queue_ptr 0
		.amdhsa_user_sgpr_kernarg_segment_ptr 1
		.amdhsa_user_sgpr_dispatch_id 0
		.amdhsa_user_sgpr_flat_scratch_init 0
		.amdhsa_user_sgpr_private_segment_size 0
		.amdhsa_uses_dynamic_stack 0
		.amdhsa_system_sgpr_private_segment_wavefront_offset 0
		.amdhsa_system_sgpr_workgroup_id_x 1
		.amdhsa_system_sgpr_workgroup_id_y 1
		.amdhsa_system_sgpr_workgroup_id_z 0
		.amdhsa_system_sgpr_workgroup_info 0
		.amdhsa_system_vgpr_workitem_id 0
		.amdhsa_next_free_vgpr 55
		.amdhsa_next_free_sgpr 30
		.amdhsa_reserve_vcc 1
		.amdhsa_reserve_flat_scratch 0
		.amdhsa_float_round_mode_32 0
		.amdhsa_float_round_mode_16_64 0
		.amdhsa_float_denorm_mode_32 3
		.amdhsa_float_denorm_mode_16_64 3
		.amdhsa_dx10_clamp 1
		.amdhsa_ieee_mode 1
		.amdhsa_fp16_overflow 0
		.amdhsa_exception_fp_ieee_invalid_op 0
		.amdhsa_exception_fp_denorm_src 0
		.amdhsa_exception_fp_ieee_div_zero 0
		.amdhsa_exception_fp_ieee_overflow 0
		.amdhsa_exception_fp_ieee_underflow 0
		.amdhsa_exception_fp_ieee_inexact 0
		.amdhsa_exception_int_div_zero 0
	.end_amdhsa_kernel
	.section	.text._ZN9rocsparseL29bsrmmnn_small_blockdim_kernelILj64ELj8ELj2EllffffEEv20rocsparse_direction_T3_S2_llNS_24const_host_device_scalarIT7_EEPKT2_PKS2_PKT4_PKT5_llS5_PT6_ll16rocsparse_order_21rocsparse_index_base_b,"axG",@progbits,_ZN9rocsparseL29bsrmmnn_small_blockdim_kernelILj64ELj8ELj2EllffffEEv20rocsparse_direction_T3_S2_llNS_24const_host_device_scalarIT7_EEPKT2_PKS2_PKT4_PKT5_llS5_PT6_ll16rocsparse_order_21rocsparse_index_base_b,comdat
.Lfunc_end2:
	.size	_ZN9rocsparseL29bsrmmnn_small_blockdim_kernelILj64ELj8ELj2EllffffEEv20rocsparse_direction_T3_S2_llNS_24const_host_device_scalarIT7_EEPKT2_PKS2_PKT4_PKT5_llS5_PT6_ll16rocsparse_order_21rocsparse_index_base_b, .Lfunc_end2-_ZN9rocsparseL29bsrmmnn_small_blockdim_kernelILj64ELj8ELj2EllffffEEv20rocsparse_direction_T3_S2_llNS_24const_host_device_scalarIT7_EEPKT2_PKS2_PKT4_PKT5_llS5_PT6_ll16rocsparse_order_21rocsparse_index_base_b
                                        ; -- End function
	.set _ZN9rocsparseL29bsrmmnn_small_blockdim_kernelILj64ELj8ELj2EllffffEEv20rocsparse_direction_T3_S2_llNS_24const_host_device_scalarIT7_EEPKT2_PKS2_PKT4_PKT5_llS5_PT6_ll16rocsparse_order_21rocsparse_index_base_b.num_vgpr, 55
	.set _ZN9rocsparseL29bsrmmnn_small_blockdim_kernelILj64ELj8ELj2EllffffEEv20rocsparse_direction_T3_S2_llNS_24const_host_device_scalarIT7_EEPKT2_PKS2_PKT4_PKT5_llS5_PT6_ll16rocsparse_order_21rocsparse_index_base_b.num_agpr, 0
	.set _ZN9rocsparseL29bsrmmnn_small_blockdim_kernelILj64ELj8ELj2EllffffEEv20rocsparse_direction_T3_S2_llNS_24const_host_device_scalarIT7_EEPKT2_PKS2_PKT4_PKT5_llS5_PT6_ll16rocsparse_order_21rocsparse_index_base_b.numbered_sgpr, 30
	.set _ZN9rocsparseL29bsrmmnn_small_blockdim_kernelILj64ELj8ELj2EllffffEEv20rocsparse_direction_T3_S2_llNS_24const_host_device_scalarIT7_EEPKT2_PKS2_PKT4_PKT5_llS5_PT6_ll16rocsparse_order_21rocsparse_index_base_b.num_named_barrier, 0
	.set _ZN9rocsparseL29bsrmmnn_small_blockdim_kernelILj64ELj8ELj2EllffffEEv20rocsparse_direction_T3_S2_llNS_24const_host_device_scalarIT7_EEPKT2_PKS2_PKT4_PKT5_llS5_PT6_ll16rocsparse_order_21rocsparse_index_base_b.private_seg_size, 0
	.set _ZN9rocsparseL29bsrmmnn_small_blockdim_kernelILj64ELj8ELj2EllffffEEv20rocsparse_direction_T3_S2_llNS_24const_host_device_scalarIT7_EEPKT2_PKS2_PKT4_PKT5_llS5_PT6_ll16rocsparse_order_21rocsparse_index_base_b.uses_vcc, 1
	.set _ZN9rocsparseL29bsrmmnn_small_blockdim_kernelILj64ELj8ELj2EllffffEEv20rocsparse_direction_T3_S2_llNS_24const_host_device_scalarIT7_EEPKT2_PKS2_PKT4_PKT5_llS5_PT6_ll16rocsparse_order_21rocsparse_index_base_b.uses_flat_scratch, 0
	.set _ZN9rocsparseL29bsrmmnn_small_blockdim_kernelILj64ELj8ELj2EllffffEEv20rocsparse_direction_T3_S2_llNS_24const_host_device_scalarIT7_EEPKT2_PKS2_PKT4_PKT5_llS5_PT6_ll16rocsparse_order_21rocsparse_index_base_b.has_dyn_sized_stack, 0
	.set _ZN9rocsparseL29bsrmmnn_small_blockdim_kernelILj64ELj8ELj2EllffffEEv20rocsparse_direction_T3_S2_llNS_24const_host_device_scalarIT7_EEPKT2_PKS2_PKT4_PKT5_llS5_PT6_ll16rocsparse_order_21rocsparse_index_base_b.has_recursion, 0
	.set _ZN9rocsparseL29bsrmmnn_small_blockdim_kernelILj64ELj8ELj2EllffffEEv20rocsparse_direction_T3_S2_llNS_24const_host_device_scalarIT7_EEPKT2_PKS2_PKT4_PKT5_llS5_PT6_ll16rocsparse_order_21rocsparse_index_base_b.has_indirect_call, 0
	.section	.AMDGPU.csdata,"",@progbits
; Kernel info:
; codeLenInByte = 1448
; TotalNumSgprs: 34
; NumVgprs: 55
; ScratchSize: 0
; MemoryBound: 0
; FloatMode: 240
; IeeeMode: 1
; LDSByteSize: 1280 bytes/workgroup (compile time only)
; SGPRBlocks: 4
; VGPRBlocks: 13
; NumSGPRsForWavesPerEU: 34
; NumVGPRsForWavesPerEU: 55
; Occupancy: 4
; WaveLimiterHint : 1
; COMPUTE_PGM_RSRC2:SCRATCH_EN: 0
; COMPUTE_PGM_RSRC2:USER_SGPR: 6
; COMPUTE_PGM_RSRC2:TRAP_HANDLER: 0
; COMPUTE_PGM_RSRC2:TGID_X_EN: 1
; COMPUTE_PGM_RSRC2:TGID_Y_EN: 1
; COMPUTE_PGM_RSRC2:TGID_Z_EN: 0
; COMPUTE_PGM_RSRC2:TIDIG_COMP_CNT: 0
	.section	.text._ZN9rocsparseL29bsrmmnn_small_blockdim_kernelILj64ELj8ELj2EiiddddEEv20rocsparse_direction_T3_S2_llNS_24const_host_device_scalarIT7_EEPKT2_PKS2_PKT4_PKT5_llS5_PT6_ll16rocsparse_order_21rocsparse_index_base_b,"axG",@progbits,_ZN9rocsparseL29bsrmmnn_small_blockdim_kernelILj64ELj8ELj2EiiddddEEv20rocsparse_direction_T3_S2_llNS_24const_host_device_scalarIT7_EEPKT2_PKS2_PKT4_PKT5_llS5_PT6_ll16rocsparse_order_21rocsparse_index_base_b,comdat
	.globl	_ZN9rocsparseL29bsrmmnn_small_blockdim_kernelILj64ELj8ELj2EiiddddEEv20rocsparse_direction_T3_S2_llNS_24const_host_device_scalarIT7_EEPKT2_PKS2_PKT4_PKT5_llS5_PT6_ll16rocsparse_order_21rocsparse_index_base_b ; -- Begin function _ZN9rocsparseL29bsrmmnn_small_blockdim_kernelILj64ELj8ELj2EiiddddEEv20rocsparse_direction_T3_S2_llNS_24const_host_device_scalarIT7_EEPKT2_PKS2_PKT4_PKT5_llS5_PT6_ll16rocsparse_order_21rocsparse_index_base_b
	.p2align	8
	.type	_ZN9rocsparseL29bsrmmnn_small_blockdim_kernelILj64ELj8ELj2EiiddddEEv20rocsparse_direction_T3_S2_llNS_24const_host_device_scalarIT7_EEPKT2_PKS2_PKT4_PKT5_llS5_PT6_ll16rocsparse_order_21rocsparse_index_base_b,@function
_ZN9rocsparseL29bsrmmnn_small_blockdim_kernelILj64ELj8ELj2EiiddddEEv20rocsparse_direction_T3_S2_llNS_24const_host_device_scalarIT7_EEPKT2_PKS2_PKT4_PKT5_llS5_PT6_ll16rocsparse_order_21rocsparse_index_base_b: ; @_ZN9rocsparseL29bsrmmnn_small_blockdim_kernelILj64ELj8ELj2EiiddddEEv20rocsparse_direction_T3_S2_llNS_24const_host_device_scalarIT7_EEPKT2_PKS2_PKT4_PKT5_llS5_PT6_ll16rocsparse_order_21rocsparse_index_base_b
; %bb.0:
	s_load_dwordx4 s[16:19], s[4:5], 0x78
	s_load_dwordx2 s[8:9], s[4:5], 0x20
	s_load_dwordx2 s[0:1], s[4:5], 0x58
	s_waitcnt lgkmcnt(0)
	s_bitcmp1_b32 s18, 0
	s_cselect_b64 s[10:11], -1, 0
	v_mov_b32_e32 v1, s8
	s_xor_b64 s[2:3], s[10:11], -1
	s_and_b64 vcc, exec, s[10:11]
	v_mov_b32_e32 v2, s9
	s_cbranch_vccnz .LBB3_2
; %bb.1:
	v_mov_b32_e32 v1, s8
	v_mov_b32_e32 v2, s9
	flat_load_dwordx2 v[1:2], v[1:2]
.LBB3_2:
	v_mov_b32_e32 v4, s1
	s_andn2_b64 vcc, exec, s[2:3]
	v_mov_b32_e32 v3, s0
	s_cbranch_vccnz .LBB3_4
; %bb.3:
	v_mov_b32_e32 v4, s1
	v_mov_b32_e32 v3, s0
	flat_load_dwordx2 v[3:4], v[3:4]
.LBB3_4:
	s_waitcnt vmcnt(0) lgkmcnt(0)
	v_cmp_neq_f64_e32 vcc, 0, v[1:2]
	v_cmp_neq_f64_e64 s[0:1], 1.0, v[3:4]
	s_or_b64 s[0:1], vcc, s[0:1]
	s_and_saveexec_b64 s[2:3], s[0:1]
	s_cbranch_execz .LBB3_27
; %bb.5:
	s_load_dword s0, s[4:5], 0x88
	s_load_dwordx4 s[20:23], s[4:5], 0x0
	s_add_u32 s1, s4, 0x88
	s_addc_u32 s3, s5, 0
	v_mov_b32_e32 v6, 0
	s_waitcnt lgkmcnt(0)
	s_cmp_lt_u32 s6, s0
	s_cselect_b32 s2, 12, 18
	s_add_u32 s2, s1, s2
	s_addc_u32 s3, s3, 0
	global_load_ushort v8, v6, s[2:3]
	s_waitcnt vmcnt(0)
	v_mul_lo_u32 v5, s6, v8
	v_add_u32_e32 v5, v5, v0
	v_lshrrev_b32_e32 v7, 4, v5
	v_cmp_gt_i32_e32 vcc, s21, v7
	s_and_b64 exec, exec, vcc
	s_cbranch_execz .LBB3_27
; %bb.6:
	v_mul_lo_u32 v8, s0, v8
	s_load_dwordx4 s[24:27], s[4:5], 0x60
	s_load_dwordx2 s[0:1], s[4:5], 0x48
	v_and_b32_e32 v23, 7, v5
	s_load_dwordx8 s[8:15], s[4:5], 0x28
	v_lshrrev_b32_e32 v24, 4, v8
	v_lshl_or_b32 v8, s7, 3, v23
	v_ashrrev_i32_e32 v9, 31, v8
	s_waitcnt lgkmcnt(0)
	v_mul_lo_u32 v17, s0, v9
	v_mul_lo_u32 v18, s1, v8
	v_mad_u64_u32 v[12:13], s[0:1], s0, v8, 0
	v_lshlrev_b64 v[10:11], 3, v[8:9]
	v_lshrrev_b32_e32 v14, 3, v5
	v_mov_b32_e32 v16, s25
	v_add_co_u32_e32 v19, vcc, s24, v10
	v_add3_u32 v13, v13, v17, v18
	v_lshrrev_b32_e32 v10, 3, v0
	v_mov_b32_e32 v0, 0x600
	v_addc_co_u32_e32 v16, vcc, v16, v11, vcc
	v_lshl_or_b32 v0, v10, 5, v0
	v_mul_u32_u24_e32 v26, 0xc0, v10
	v_lshlrev_b64 v[10:11], 3, v[12:13]
	v_mad_u64_u32 v[12:13], s[2:3], s26, v14, 0
	v_mov_b32_e32 v22, s15
	v_add_co_u32_e64 v27, s[2:3], s14, v10
	v_mov_b32_e32 v10, v13
	v_addc_co_u32_e64 v28, s[2:3], v22, v11, s[2:3]
	v_mad_u64_u32 v[10:11], s[2:3], s27, v14, v[10:11]
	v_mul_lo_u32 v14, s26, v9
	v_mul_lo_u32 v22, s27, v8
	v_mov_b32_e32 v13, v10
	v_lshlrev_b64 v[10:11], 3, v[12:13]
	v_mad_u64_u32 v[12:13], s[4:5], s26, v8, 0
	v_cmp_neq_f64_e64 s[2:3], 0, v[3:4]
	v_add_co_u32_e64 v9, s[4:5], v19, v10
	v_add3_u32 v13, v13, v14, v22
	v_addc_co_u32_e64 v10, s[4:5], v16, v11, s[4:5]
	v_lshlrev_b64 v[11:12], 3, v[12:13]
	v_bfe_u32 v15, v5, 3, 1
	v_cmp_gt_i32_e64 s[0:1], s22, v8
	v_mov_b32_e32 v8, s25
	v_add_co_u32_e64 v11, s[4:5], s24, v11
	s_cmp_eq_u32 s20, 0
	v_lshlrev_b32_e32 v18, 1, v15
	v_addc_co_u32_e64 v8, s[4:5], v8, v12, s[4:5]
	v_and_b32_e32 v5, -8, v5
	v_or_b32_e32 v17, 2, v15
	s_cselect_b64 vcc, -1, 0
	v_mul_u32_u24_e32 v20, 24, v23
	v_or_b32_e32 v21, 1, v18
	s_cmp_lg_u32 s16, 1
	v_add_co_u32_e64 v11, s[4:5], v11, v5
	v_lshl_or_b32 v25, v23, 2, v0
	s_mov_b64 s[6:7], 0
	s_cselect_b64 s[14:15], -1, 0
	v_addc_co_u32_e64 v12, s[4:5], 0, v8, s[4:5]
	v_cndmask_b32_e32 v29, v15, v18, vcc
	v_cndmask_b32_e32 v30, v17, v21, vcc
	v_subrev_u32_e32 v31, s17, v23
	v_add_u32_e32 v32, v26, v20
	s_branch .LBB3_8
.LBB3_7:                                ;   in Loop: Header=BB3_8 Depth=1
	s_or_b64 exec, exec, s[4:5]
	v_add_u32_e32 v7, v7, v24
	v_cmp_le_i32_e32 vcc, s21, v7
	s_or_b64 s[6:7], vcc, s[6:7]
	s_andn2_b64 exec, exec, s[6:7]
	s_cbranch_execz .LBB3_27
.LBB3_8:                                ; =>This Loop Header: Depth=1
                                        ;     Child Loop BB3_11 Depth 2
	v_mov_b32_e32 v8, v6
	v_lshlrev_b64 v[13:14], 2, v[7:8]
	v_mov_b32_e32 v5, s9
	v_add_co_u32_e32 v13, vcc, s8, v13
	v_addc_co_u32_e32 v14, vcc, v5, v14, vcc
	global_load_dwordx2 v[13:14], v[13:14], off
	v_mov_b32_e32 v15, 0
	v_mov_b32_e32 v16, 0
	s_waitcnt vmcnt(0)
	v_cmp_lt_i32_e32 vcc, v13, v14
	s_and_saveexec_b64 s[4:5], vcc
	s_cbranch_execz .LBB3_16
; %bb.9:                                ;   in Loop: Header=BB3_8 Depth=1
	v_add_lshl_u32 v5, v31, v13, 2
	v_mov_b32_e32 v15, 0
	v_subrev_u32_e32 v8, s17, v14
	v_subrev_u32_e32 v33, s17, v13
	v_or_b32_e32 v13, v30, v5
	v_or_b32_e32 v5, v29, v5
	v_mov_b32_e32 v16, 0
	s_mov_b64 s[18:19], 0
	s_branch .LBB3_11
.LBB3_10:                               ;   in Loop: Header=BB3_11 Depth=2
	s_or_b64 exec, exec, s[22:23]
	v_add_u32_e32 v33, 8, v33
	v_cmp_ge_i32_e32 vcc, v33, v8
	v_add_u32_e32 v13, 32, v13
	s_or_b64 s[18:19], vcc, s[18:19]
	v_add_u32_e32 v5, 32, v5
	s_andn2_b64 exec, exec, s[18:19]
	s_cbranch_execz .LBB3_15
.LBB3_11:                               ;   Parent Loop BB3_8 Depth=1
                                        ; =>  This Inner Loop Header: Depth=2
	v_add_u32_e32 v21, v23, v33
	v_mov_b32_e32 v17, 0
	v_mov_b32_e32 v19, 0
	v_cmp_lt_i32_e32 vcc, v21, v8
	v_mov_b32_e32 v18, 0
	v_mov_b32_e32 v20, 0
	;; [unrolled: 1-line block ×3, first 2 shown]
	s_and_saveexec_b64 s[22:23], vcc
	s_cbranch_execz .LBB3_13
; %bb.12:                               ;   in Loop: Header=BB3_11 Depth=2
	v_ashrrev_i32_e32 v22, 31, v21
	v_lshlrev_b64 v[17:18], 2, v[21:22]
	v_mov_b32_e32 v14, s11
	v_add_co_u32_e32 v17, vcc, s10, v17
	v_addc_co_u32_e32 v18, vcc, v14, v18, vcc
	global_load_dword v36, v[17:18], off
	v_lshlrev_b64 v[17:18], 3, v[5:6]
	v_mov_b32_e32 v14, s13
	v_add_co_u32_e32 v21, vcc, s12, v17
	v_addc_co_u32_e32 v22, vcc, v14, v18, vcc
	v_mov_b32_e32 v14, v6
	v_lshlrev_b64 v[17:18], 3, v[13:14]
	v_mov_b32_e32 v14, s13
	v_add_co_u32_e32 v34, vcc, s12, v17
	v_addc_co_u32_e32 v35, vcc, v14, v18, vcc
	global_load_dwordx2 v[17:18], v[21:22], off
	global_load_dwordx2 v[19:20], v[34:35], off
	s_waitcnt vmcnt(2)
	v_subrev_u32_e32 v14, s17, v36
	v_lshlrev_b32_e32 v14, 1, v14
.LBB3_13:                               ;   in Loop: Header=BB3_11 Depth=2
	s_or_b64 exec, exec, s[22:23]
	ds_write_b32 v25, v14
	s_waitcnt vmcnt(0)
	ds_write2_b64 v32, v[17:18], v[19:20] offset1:1
	s_waitcnt lgkmcnt(0)
	; wave barrier
	s_and_saveexec_b64 s[22:23], s[0:1]
	s_cbranch_execz .LBB3_10
; %bb.14:                               ;   in Loop: Header=BB3_11 Depth=2
	ds_read_b128 v[17:20], v0
	ds_read_b128 v[34:37], v0 offset:16
	s_waitcnt lgkmcnt(1)
	v_ashrrev_i32_e32 v22, 31, v17
	v_mov_b32_e32 v21, v17
	v_lshlrev_b64 v[21:22], 3, v[21:22]
	v_add_co_u32_e32 v21, vcc, v27, v21
	v_addc_co_u32_e32 v22, vcc, v28, v22, vcc
	global_load_dwordx4 v[38:41], v[21:22], off
	v_ashrrev_i32_e32 v22, 31, v18
	v_mov_b32_e32 v21, v18
	v_lshlrev_b64 v[17:18], 3, v[21:22]
	s_waitcnt lgkmcnt(0)
	v_ashrrev_i32_e32 v22, 31, v34
	v_add_co_u32_e32 v17, vcc, v27, v17
	v_addc_co_u32_e32 v18, vcc, v28, v18, vcc
	global_load_dwordx4 v[42:45], v[17:18], off
	v_ashrrev_i32_e32 v18, 31, v19
	v_mov_b32_e32 v17, v19
	v_lshlrev_b64 v[17:18], 3, v[17:18]
	v_mov_b32_e32 v21, v34
	v_add_co_u32_e32 v17, vcc, v27, v17
	v_addc_co_u32_e32 v18, vcc, v28, v18, vcc
	global_load_dwordx4 v[46:49], v[17:18], off
	v_ashrrev_i32_e32 v18, 31, v20
	v_mov_b32_e32 v17, v20
	v_lshlrev_b64 v[17:18], 3, v[17:18]
	v_lshlrev_b64 v[21:22], 3, v[21:22]
	v_add_co_u32_e32 v17, vcc, v27, v17
	v_addc_co_u32_e32 v18, vcc, v28, v18, vcc
	global_load_dwordx4 v[17:20], v[17:18], off
	v_add_co_u32_e32 v21, vcc, v27, v21
	v_addc_co_u32_e32 v22, vcc, v28, v22, vcc
	global_load_dwordx4 v[50:53], v[21:22], off
	v_ashrrev_i32_e32 v22, 31, v35
	v_mov_b32_e32 v21, v35
	ds_read_b128 v[54:57], v26
	ds_read2_b64 v[58:61], v26 offset0:3 offset1:4
	v_lshlrev_b64 v[21:22], 3, v[21:22]
	v_add_co_u32_e32 v21, vcc, v27, v21
	v_addc_co_u32_e32 v22, vcc, v28, v22, vcc
	global_load_dwordx4 v[62:65], v[21:22], off
	v_ashrrev_i32_e32 v22, 31, v36
	v_mov_b32_e32 v21, v36
	v_lshlrev_b64 v[21:22], 3, v[21:22]
	v_add_co_u32_e32 v21, vcc, v27, v21
	v_addc_co_u32_e32 v22, vcc, v28, v22, vcc
	s_waitcnt vmcnt(5) lgkmcnt(1)
	v_fma_f64 v[14:15], v[54:55], v[38:39], v[15:16]
	v_fma_f64 v[14:15], v[56:57], v[40:41], v[14:15]
	global_load_dwordx4 v[38:41], v[21:22], off
	v_ashrrev_i32_e32 v22, 31, v37
	v_mov_b32_e32 v21, v37
	ds_read_b128 v[54:57], v26 offset:48
	ds_read2_b64 v[66:69], v26 offset0:9 offset1:10
	v_lshlrev_b64 v[21:22], 3, v[21:22]
	v_add_co_u32_e32 v21, vcc, v27, v21
	s_waitcnt vmcnt(5) lgkmcnt(2)
	v_fma_f64 v[14:15], v[58:59], v[42:43], v[14:15]
	v_addc_co_u32_e32 v22, vcc, v28, v22, vcc
	global_load_dwordx4 v[34:37], v[21:22], off
	v_fma_f64 v[14:15], v[60:61], v[44:45], v[14:15]
	s_waitcnt vmcnt(5) lgkmcnt(1)
	v_fma_f64 v[14:15], v[54:55], v[46:47], v[14:15]
	v_fma_f64 v[14:15], v[56:57], v[48:49], v[14:15]
	s_waitcnt vmcnt(4) lgkmcnt(0)
	v_fma_f64 v[14:15], v[66:67], v[17:18], v[14:15]
	v_fma_f64 v[42:43], v[68:69], v[19:20], v[14:15]
	ds_read_b128 v[14:17], v26 offset:96
	ds_read2_b64 v[18:21], v26 offset0:15 offset1:16
	s_waitcnt vmcnt(3) lgkmcnt(1)
	v_fma_f64 v[14:15], v[14:15], v[50:51], v[42:43]
	v_fma_f64 v[14:15], v[16:17], v[52:53], v[14:15]
	s_waitcnt vmcnt(2) lgkmcnt(0)
	v_fma_f64 v[14:15], v[18:19], v[62:63], v[14:15]
	v_fma_f64 v[42:43], v[20:21], v[64:65], v[14:15]
	ds_read_b128 v[14:17], v26 offset:144
	ds_read2_b64 v[18:21], v26 offset0:21 offset1:22
	s_waitcnt vmcnt(1) lgkmcnt(1)
	v_fma_f64 v[14:15], v[14:15], v[38:39], v[42:43]
	v_fma_f64 v[14:15], v[16:17], v[40:41], v[14:15]
	s_waitcnt vmcnt(0) lgkmcnt(0)
	v_fma_f64 v[14:15], v[18:19], v[34:35], v[14:15]
	v_fma_f64 v[15:16], v[20:21], v[36:37], v[14:15]
	s_branch .LBB3_10
.LBB3_15:                               ;   in Loop: Header=BB3_8 Depth=1
	s_or_b64 exec, exec, s[18:19]
.LBB3_16:                               ;   in Loop: Header=BB3_8 Depth=1
	s_or_b64 exec, exec, s[4:5]
	s_and_saveexec_b64 s[4:5], s[0:1]
	s_cbranch_execz .LBB3_7
; %bb.17:                               ;   in Loop: Header=BB3_8 Depth=1
	v_mul_f64 v[13:14], v[1:2], v[15:16]
	s_and_saveexec_b64 s[18:19], s[2:3]
	s_xor_b64 s[18:19], exec, s[18:19]
	s_cbranch_execz .LBB3_22
; %bb.18:                               ;   in Loop: Header=BB3_8 Depth=1
	s_mov_b64 s[22:23], -1
	s_and_b64 vcc, exec, s[14:15]
	s_cbranch_vccz .LBB3_20
; %bb.19:                               ;   in Loop: Header=BB3_8 Depth=1
	global_load_dwordx2 v[15:16], v[9:10], off
	s_mov_b64 s[22:23], 0
	s_waitcnt vmcnt(0)
	v_fma_f64 v[15:16], v[3:4], v[15:16], v[13:14]
	global_store_dwordx2 v[9:10], v[15:16], off
.LBB3_20:                               ;   in Loop: Header=BB3_8 Depth=1
	s_andn2_b64 vcc, exec, s[22:23]
	s_cbranch_vccnz .LBB3_22
; %bb.21:                               ;   in Loop: Header=BB3_8 Depth=1
	global_load_dwordx2 v[15:16], v[11:12], off
	s_waitcnt vmcnt(0)
	v_fma_f64 v[13:14], v[3:4], v[15:16], v[13:14]
	global_store_dwordx2 v[11:12], v[13:14], off
                                        ; implicit-def: $vgpr13_vgpr14
.LBB3_22:                               ;   in Loop: Header=BB3_8 Depth=1
	s_andn2_saveexec_b64 s[18:19], s[18:19]
	s_cbranch_execz .LBB3_7
; %bb.23:                               ;   in Loop: Header=BB3_8 Depth=1
	s_mov_b64 s[18:19], -1
	s_and_b64 vcc, exec, s[14:15]
	s_cbranch_vccz .LBB3_25
; %bb.24:                               ;   in Loop: Header=BB3_8 Depth=1
	global_store_dwordx2 v[9:10], v[13:14], off
	s_mov_b64 s[18:19], 0
.LBB3_25:                               ;   in Loop: Header=BB3_8 Depth=1
	s_andn2_b64 vcc, exec, s[18:19]
	s_cbranch_vccnz .LBB3_7
; %bb.26:                               ;   in Loop: Header=BB3_8 Depth=1
	global_store_dwordx2 v[11:12], v[13:14], off
	s_branch .LBB3_7
.LBB3_27:
	s_endpgm
	.section	.rodata,"a",@progbits
	.p2align	6, 0x0
	.amdhsa_kernel _ZN9rocsparseL29bsrmmnn_small_blockdim_kernelILj64ELj8ELj2EiiddddEEv20rocsparse_direction_T3_S2_llNS_24const_host_device_scalarIT7_EEPKT2_PKS2_PKT4_PKT5_llS5_PT6_ll16rocsparse_order_21rocsparse_index_base_b
		.amdhsa_group_segment_fixed_size 1792
		.amdhsa_private_segment_fixed_size 0
		.amdhsa_kernarg_size 392
		.amdhsa_user_sgpr_count 6
		.amdhsa_user_sgpr_private_segment_buffer 1
		.amdhsa_user_sgpr_dispatch_ptr 0
		.amdhsa_user_sgpr_queue_ptr 0
		.amdhsa_user_sgpr_kernarg_segment_ptr 1
		.amdhsa_user_sgpr_dispatch_id 0
		.amdhsa_user_sgpr_flat_scratch_init 0
		.amdhsa_user_sgpr_private_segment_size 0
		.amdhsa_uses_dynamic_stack 0
		.amdhsa_system_sgpr_private_segment_wavefront_offset 0
		.amdhsa_system_sgpr_workgroup_id_x 1
		.amdhsa_system_sgpr_workgroup_id_y 1
		.amdhsa_system_sgpr_workgroup_id_z 0
		.amdhsa_system_sgpr_workgroup_info 0
		.amdhsa_system_vgpr_workitem_id 0
		.amdhsa_next_free_vgpr 70
		.amdhsa_next_free_sgpr 61
		.amdhsa_reserve_vcc 1
		.amdhsa_reserve_flat_scratch 0
		.amdhsa_float_round_mode_32 0
		.amdhsa_float_round_mode_16_64 0
		.amdhsa_float_denorm_mode_32 3
		.amdhsa_float_denorm_mode_16_64 3
		.amdhsa_dx10_clamp 1
		.amdhsa_ieee_mode 1
		.amdhsa_fp16_overflow 0
		.amdhsa_exception_fp_ieee_invalid_op 0
		.amdhsa_exception_fp_denorm_src 0
		.amdhsa_exception_fp_ieee_div_zero 0
		.amdhsa_exception_fp_ieee_overflow 0
		.amdhsa_exception_fp_ieee_underflow 0
		.amdhsa_exception_fp_ieee_inexact 0
		.amdhsa_exception_int_div_zero 0
	.end_amdhsa_kernel
	.section	.text._ZN9rocsparseL29bsrmmnn_small_blockdim_kernelILj64ELj8ELj2EiiddddEEv20rocsparse_direction_T3_S2_llNS_24const_host_device_scalarIT7_EEPKT2_PKS2_PKT4_PKT5_llS5_PT6_ll16rocsparse_order_21rocsparse_index_base_b,"axG",@progbits,_ZN9rocsparseL29bsrmmnn_small_blockdim_kernelILj64ELj8ELj2EiiddddEEv20rocsparse_direction_T3_S2_llNS_24const_host_device_scalarIT7_EEPKT2_PKS2_PKT4_PKT5_llS5_PT6_ll16rocsparse_order_21rocsparse_index_base_b,comdat
.Lfunc_end3:
	.size	_ZN9rocsparseL29bsrmmnn_small_blockdim_kernelILj64ELj8ELj2EiiddddEEv20rocsparse_direction_T3_S2_llNS_24const_host_device_scalarIT7_EEPKT2_PKS2_PKT4_PKT5_llS5_PT6_ll16rocsparse_order_21rocsparse_index_base_b, .Lfunc_end3-_ZN9rocsparseL29bsrmmnn_small_blockdim_kernelILj64ELj8ELj2EiiddddEEv20rocsparse_direction_T3_S2_llNS_24const_host_device_scalarIT7_EEPKT2_PKS2_PKT4_PKT5_llS5_PT6_ll16rocsparse_order_21rocsparse_index_base_b
                                        ; -- End function
	.set _ZN9rocsparseL29bsrmmnn_small_blockdim_kernelILj64ELj8ELj2EiiddddEEv20rocsparse_direction_T3_S2_llNS_24const_host_device_scalarIT7_EEPKT2_PKS2_PKT4_PKT5_llS5_PT6_ll16rocsparse_order_21rocsparse_index_base_b.num_vgpr, 70
	.set _ZN9rocsparseL29bsrmmnn_small_blockdim_kernelILj64ELj8ELj2EiiddddEEv20rocsparse_direction_T3_S2_llNS_24const_host_device_scalarIT7_EEPKT2_PKS2_PKT4_PKT5_llS5_PT6_ll16rocsparse_order_21rocsparse_index_base_b.num_agpr, 0
	.set _ZN9rocsparseL29bsrmmnn_small_blockdim_kernelILj64ELj8ELj2EiiddddEEv20rocsparse_direction_T3_S2_llNS_24const_host_device_scalarIT7_EEPKT2_PKS2_PKT4_PKT5_llS5_PT6_ll16rocsparse_order_21rocsparse_index_base_b.numbered_sgpr, 28
	.set _ZN9rocsparseL29bsrmmnn_small_blockdim_kernelILj64ELj8ELj2EiiddddEEv20rocsparse_direction_T3_S2_llNS_24const_host_device_scalarIT7_EEPKT2_PKS2_PKT4_PKT5_llS5_PT6_ll16rocsparse_order_21rocsparse_index_base_b.num_named_barrier, 0
	.set _ZN9rocsparseL29bsrmmnn_small_blockdim_kernelILj64ELj8ELj2EiiddddEEv20rocsparse_direction_T3_S2_llNS_24const_host_device_scalarIT7_EEPKT2_PKS2_PKT4_PKT5_llS5_PT6_ll16rocsparse_order_21rocsparse_index_base_b.private_seg_size, 0
	.set _ZN9rocsparseL29bsrmmnn_small_blockdim_kernelILj64ELj8ELj2EiiddddEEv20rocsparse_direction_T3_S2_llNS_24const_host_device_scalarIT7_EEPKT2_PKS2_PKT4_PKT5_llS5_PT6_ll16rocsparse_order_21rocsparse_index_base_b.uses_vcc, 1
	.set _ZN9rocsparseL29bsrmmnn_small_blockdim_kernelILj64ELj8ELj2EiiddddEEv20rocsparse_direction_T3_S2_llNS_24const_host_device_scalarIT7_EEPKT2_PKS2_PKT4_PKT5_llS5_PT6_ll16rocsparse_order_21rocsparse_index_base_b.uses_flat_scratch, 0
	.set _ZN9rocsparseL29bsrmmnn_small_blockdim_kernelILj64ELj8ELj2EiiddddEEv20rocsparse_direction_T3_S2_llNS_24const_host_device_scalarIT7_EEPKT2_PKS2_PKT4_PKT5_llS5_PT6_ll16rocsparse_order_21rocsparse_index_base_b.has_dyn_sized_stack, 0
	.set _ZN9rocsparseL29bsrmmnn_small_blockdim_kernelILj64ELj8ELj2EiiddddEEv20rocsparse_direction_T3_S2_llNS_24const_host_device_scalarIT7_EEPKT2_PKS2_PKT4_PKT5_llS5_PT6_ll16rocsparse_order_21rocsparse_index_base_b.has_recursion, 0
	.set _ZN9rocsparseL29bsrmmnn_small_blockdim_kernelILj64ELj8ELj2EiiddddEEv20rocsparse_direction_T3_S2_llNS_24const_host_device_scalarIT7_EEPKT2_PKS2_PKT4_PKT5_llS5_PT6_ll16rocsparse_order_21rocsparse_index_base_b.has_indirect_call, 0
	.section	.AMDGPU.csdata,"",@progbits
; Kernel info:
; codeLenInByte = 1616
; TotalNumSgprs: 32
; NumVgprs: 70
; ScratchSize: 0
; MemoryBound: 0
; FloatMode: 240
; IeeeMode: 1
; LDSByteSize: 1792 bytes/workgroup (compile time only)
; SGPRBlocks: 8
; VGPRBlocks: 17
; NumSGPRsForWavesPerEU: 65
; NumVGPRsForWavesPerEU: 70
; Occupancy: 3
; WaveLimiterHint : 1
; COMPUTE_PGM_RSRC2:SCRATCH_EN: 0
; COMPUTE_PGM_RSRC2:USER_SGPR: 6
; COMPUTE_PGM_RSRC2:TRAP_HANDLER: 0
; COMPUTE_PGM_RSRC2:TGID_X_EN: 1
; COMPUTE_PGM_RSRC2:TGID_Y_EN: 1
; COMPUTE_PGM_RSRC2:TGID_Z_EN: 0
; COMPUTE_PGM_RSRC2:TIDIG_COMP_CNT: 0
	.section	.text._ZN9rocsparseL29bsrmmnn_small_blockdim_kernelILj64ELj8ELj2EliddddEEv20rocsparse_direction_T3_S2_llNS_24const_host_device_scalarIT7_EEPKT2_PKS2_PKT4_PKT5_llS5_PT6_ll16rocsparse_order_21rocsparse_index_base_b,"axG",@progbits,_ZN9rocsparseL29bsrmmnn_small_blockdim_kernelILj64ELj8ELj2EliddddEEv20rocsparse_direction_T3_S2_llNS_24const_host_device_scalarIT7_EEPKT2_PKS2_PKT4_PKT5_llS5_PT6_ll16rocsparse_order_21rocsparse_index_base_b,comdat
	.globl	_ZN9rocsparseL29bsrmmnn_small_blockdim_kernelILj64ELj8ELj2EliddddEEv20rocsparse_direction_T3_S2_llNS_24const_host_device_scalarIT7_EEPKT2_PKS2_PKT4_PKT5_llS5_PT6_ll16rocsparse_order_21rocsparse_index_base_b ; -- Begin function _ZN9rocsparseL29bsrmmnn_small_blockdim_kernelILj64ELj8ELj2EliddddEEv20rocsparse_direction_T3_S2_llNS_24const_host_device_scalarIT7_EEPKT2_PKS2_PKT4_PKT5_llS5_PT6_ll16rocsparse_order_21rocsparse_index_base_b
	.p2align	8
	.type	_ZN9rocsparseL29bsrmmnn_small_blockdim_kernelILj64ELj8ELj2EliddddEEv20rocsparse_direction_T3_S2_llNS_24const_host_device_scalarIT7_EEPKT2_PKS2_PKT4_PKT5_llS5_PT6_ll16rocsparse_order_21rocsparse_index_base_b,@function
_ZN9rocsparseL29bsrmmnn_small_blockdim_kernelILj64ELj8ELj2EliddddEEv20rocsparse_direction_T3_S2_llNS_24const_host_device_scalarIT7_EEPKT2_PKS2_PKT4_PKT5_llS5_PT6_ll16rocsparse_order_21rocsparse_index_base_b: ; @_ZN9rocsparseL29bsrmmnn_small_blockdim_kernelILj64ELj8ELj2EliddddEEv20rocsparse_direction_T3_S2_llNS_24const_host_device_scalarIT7_EEPKT2_PKS2_PKT4_PKT5_llS5_PT6_ll16rocsparse_order_21rocsparse_index_base_b
; %bb.0:
	s_load_dwordx4 s[16:19], s[4:5], 0x78
	s_load_dwordx2 s[8:9], s[4:5], 0x20
	s_load_dwordx2 s[0:1], s[4:5], 0x58
	s_waitcnt lgkmcnt(0)
	s_bitcmp1_b32 s18, 0
	s_cselect_b64 s[10:11], -1, 0
	v_mov_b32_e32 v4, s8
	s_xor_b64 s[2:3], s[10:11], -1
	s_and_b64 vcc, exec, s[10:11]
	v_mov_b32_e32 v5, s9
	s_cbranch_vccnz .LBB4_2
; %bb.1:
	v_mov_b32_e32 v1, s8
	v_mov_b32_e32 v2, s9
	flat_load_dwordx2 v[4:5], v[1:2]
.LBB4_2:
	v_mov_b32_e32 v7, s1
	s_andn2_b64 vcc, exec, s[2:3]
	v_mov_b32_e32 v6, s0
	s_cbranch_vccnz .LBB4_4
; %bb.3:
	v_mov_b32_e32 v2, s1
	v_mov_b32_e32 v1, s0
	flat_load_dwordx2 v[6:7], v[1:2]
.LBB4_4:
	s_waitcnt vmcnt(0) lgkmcnt(0)
	v_cmp_neq_f64_e32 vcc, 0, v[4:5]
	v_cmp_neq_f64_e64 s[0:1], 1.0, v[6:7]
	s_or_b64 s[0:1], vcc, s[0:1]
	s_and_saveexec_b64 s[2:3], s[0:1]
	s_cbranch_execz .LBB4_27
; %bb.5:
	s_load_dword s0, s[4:5], 0x88
	s_load_dwordx4 s[20:23], s[4:5], 0x0
	s_add_u32 s1, s4, 0x88
	s_addc_u32 s3, s5, 0
	v_mov_b32_e32 v9, 0
	s_waitcnt lgkmcnt(0)
	s_cmp_lt_u32 s6, s0
	s_cselect_b32 s2, 12, 18
	s_add_u32 s2, s1, s2
	s_addc_u32 s3, s3, 0
	global_load_ushort v2, v9, s[2:3]
	s_waitcnt vmcnt(0)
	v_mul_lo_u32 v1, s6, v2
	v_add_u32_e32 v1, v1, v0
	v_lshrrev_b32_e32 v8, 4, v1
	v_cmp_gt_i32_e32 vcc, s21, v8
	s_and_b64 exec, exec, vcc
	s_cbranch_execz .LBB4_27
; %bb.6:
	v_mul_lo_u32 v2, s0, v2
	v_and_b32_e32 v25, 7, v1
	s_load_dwordx8 s[8:15], s[4:5], 0x28
	s_load_dwordx4 s[24:27], s[4:5], 0x60
	s_load_dwordx2 s[0:1], s[4:5], 0x48
	v_lshrrev_b32_e32 v0, 3, v0
	v_lshrrev_b32_e32 v24, 4, v2
	v_lshl_or_b32 v2, s7, 3, v25
	v_ashrrev_i32_e32 v3, 31, v2
	v_lshlrev_b64 v[10:11], 3, v[2:3]
	s_waitcnt lgkmcnt(0)
	v_mov_b32_e32 v14, s25
	v_add_co_u32_e32 v17, vcc, s24, v10
	v_addc_co_u32_e32 v18, vcc, v14, v11, vcc
	v_lshrrev_b32_e32 v14, 3, v1
	v_mov_b32_e32 v10, 0x600
	v_mul_lo_u32 v15, s0, v3
	v_mul_lo_u32 v16, s1, v2
	v_mad_u64_u32 v[12:13], s[0:1], s0, v2, 0
	v_lshl_or_b32 v26, v0, 5, v10
	v_mad_u64_u32 v[10:11], s[0:1], s26, v14, 0
	v_add3_u32 v13, v13, v15, v16
	v_mul_u32_u24_e32 v28, 0xc0, v0
	v_mov_b32_e32 v0, v11
	v_lshlrev_b64 v[12:13], 3, v[12:13]
	v_mad_u64_u32 v[14:15], s[2:3], s27, v14, v[0:1]
	v_cmp_gt_i32_e64 s[0:1], s22, v2
	v_add_co_u32_e32 v29, vcc, s14, v12
	v_mul_lo_u32 v0, s26, v3
	v_mul_lo_u32 v12, s27, v2
	v_mad_u64_u32 v[2:3], s[4:5], s26, v2, 0
	v_mov_b32_e32 v11, v14
	v_mov_b32_e32 v20, s15
	v_lshlrev_b64 v[10:11], 3, v[10:11]
	v_addc_co_u32_e32 v30, vcc, v20, v13, vcc
	v_add3_u32 v3, v3, v0, v12
	v_add_co_u32_e32 v10, vcc, v17, v10
	v_lshlrev_b64 v[2:3], 3, v[2:3]
	v_addc_co_u32_e32 v11, vcc, v18, v11, vcc
	s_cmp_lg_u32 s16, 1
	v_cmp_neq_f64_e64 s[2:3], 0, v[6:7]
	v_mov_b32_e32 v0, s25
	v_add_co_u32_e32 v2, vcc, s24, v2
	v_bfe_u32 v19, v1, 3, 1
	s_cselect_b64 s[6:7], -1, 0
	s_cmp_eq_u32 s20, 0
	v_addc_co_u32_e32 v0, vcc, v0, v3, vcc
	v_and_b32_e32 v1, -8, v1
	v_add_co_u32_e32 v12, vcc, v2, v1
	s_cselect_b64 s[4:5], -1, 0
	v_addc_co_u32_e32 v13, vcc, 0, v0, vcc
	v_cndmask_b32_e64 v0, 0, 1, s[4:5]
	v_lshlrev_b32_e32 v0, v0, v19
	v_subrev_co_u32_e32 v31, vcc, s17, v25
	v_lshlrev_b32_e32 v0, 3, v0
	v_mul_u32_u24_e32 v16, 24, v25
	s_and_b64 s[4:5], s[4:5], exec
	v_subb_co_u32_e64 v32, s[4:5], 0, 0, vcc
	v_mov_b32_e32 v1, s13
	v_add_co_u32_e32 v33, vcc, s12, v0
	s_mov_b32 s28, s17
	v_lshl_or_b32 v27, v25, 2, v26
	s_mov_b64 s[14:15], 0
	s_cselect_b32 s16, 8, 16
	v_addc_co_u32_e32 v34, vcc, 0, v1, vcc
	v_add_u32_e32 v35, v28, v16
	s_branch .LBB4_8
.LBB4_7:                                ;   in Loop: Header=BB4_8 Depth=1
	s_or_b64 exec, exec, s[4:5]
	v_add_u32_e32 v8, v8, v24
	v_cmp_le_i32_e32 vcc, s21, v8
	s_or_b64 s[14:15], vcc, s[14:15]
	s_andn2_b64 exec, exec, s[14:15]
	s_cbranch_execz .LBB4_27
.LBB4_8:                                ; =>This Loop Header: Depth=1
                                        ;     Child Loop BB4_11 Depth 2
	v_lshlrev_b64 v[0:1], 3, v[8:9]
	v_mov_b32_e32 v2, s9
	v_add_co_u32_e32 v0, vcc, s8, v0
	v_addc_co_u32_e32 v1, vcc, v2, v1, vcc
	global_load_dwordx4 v[0:3], v[0:1], off
	v_mov_b32_e32 v18, 0
	v_mov_b32_e32 v19, 0
	s_waitcnt vmcnt(0)
	v_cmp_lt_i64_e32 vcc, v[0:1], v[2:3]
	s_and_saveexec_b64 s[12:13], vcc
	s_cbranch_execz .LBB4_16
; %bb.9:                                ;   in Loop: Header=BB4_8 Depth=1
	v_subrev_co_u32_e32 v2, vcc, s28, v2
	v_subbrev_co_u32_e32 v3, vcc, 0, v3, vcc
	v_subrev_co_u32_e32 v14, vcc, s28, v0
	v_subbrev_co_u32_e32 v15, vcc, 0, v1, vcc
	v_add_co_u32_e32 v16, vcc, v31, v0
	v_addc_co_u32_e32 v17, vcc, v32, v1, vcc
	v_lshlrev_b64 v[0:1], 2, v[16:17]
	v_mov_b32_e32 v18, s11
	v_add_co_u32_e32 v0, vcc, s10, v0
	v_lshlrev_b64 v[16:17], 5, v[16:17]
	v_addc_co_u32_e32 v1, vcc, v18, v1, vcc
	v_add_co_u32_e32 v16, vcc, v33, v16
	v_mov_b32_e32 v18, 0
	v_addc_co_u32_e32 v17, vcc, v34, v17, vcc
	v_mov_b32_e32 v19, 0
	s_mov_b64 s[18:19], 0
	s_branch .LBB4_11
.LBB4_10:                               ;   in Loop: Header=BB4_11 Depth=2
	s_or_b64 exec, exec, s[22:23]
	v_add_co_u32_e32 v14, vcc, 8, v14
	v_addc_co_u32_e32 v15, vcc, 0, v15, vcc
	v_add_co_u32_e32 v0, vcc, 32, v0
	v_addc_co_u32_e32 v1, vcc, 0, v1, vcc
	v_cmp_ge_i64_e64 s[4:5], v[14:15], v[2:3]
	v_add_co_u32_e32 v16, vcc, 0x100, v16
	s_or_b64 s[18:19], s[4:5], s[18:19]
	v_addc_co_u32_e32 v17, vcc, 0, v17, vcc
	s_andn2_b64 exec, exec, s[18:19]
	s_cbranch_execz .LBB4_15
.LBB4_11:                               ;   Parent Loop BB4_8 Depth=1
                                        ; =>  This Inner Loop Header: Depth=2
	v_add_co_u32_e32 v20, vcc, v25, v14
	v_addc_co_u32_e32 v21, vcc, 0, v15, vcc
	v_cmp_lt_i64_e32 vcc, v[20:21], v[2:3]
	v_mov_b32_e32 v20, 0
	v_mov_b32_e32 v22, 0
	;; [unrolled: 1-line block ×5, first 2 shown]
	s_and_saveexec_b64 s[4:5], vcc
	s_cbranch_execz .LBB4_13
; %bb.12:                               ;   in Loop: Header=BB4_11 Depth=2
	global_load_dword v38, v[0:1], off
	v_add_co_u32_e32 v36, vcc, s16, v16
	v_addc_co_u32_e32 v37, vcc, 0, v17, vcc
	global_load_dwordx2 v[20:21], v[16:17], off
	global_load_dwordx2 v[22:23], v[36:37], off
	s_waitcnt vmcnt(2)
	v_subrev_u32_e32 v36, s17, v38
	v_lshlrev_b32_e32 v36, 1, v36
.LBB4_13:                               ;   in Loop: Header=BB4_11 Depth=2
	s_or_b64 exec, exec, s[4:5]
	ds_write_b32 v27, v36
	s_waitcnt vmcnt(0)
	ds_write2_b64 v35, v[20:21], v[22:23] offset1:1
	s_waitcnt lgkmcnt(0)
	; wave barrier
	s_and_saveexec_b64 s[22:23], s[0:1]
	s_cbranch_execz .LBB4_10
; %bb.14:                               ;   in Loop: Header=BB4_11 Depth=2
	ds_read_b128 v[20:23], v26
	s_waitcnt lgkmcnt(0)
	v_ashrrev_i32_e32 v37, 31, v20
	v_mov_b32_e32 v36, v20
	v_lshlrev_b64 v[36:37], 3, v[36:37]
	v_ashrrev_i32_e32 v41, 31, v21
	v_add_co_u32_e32 v36, vcc, v29, v36
	v_addc_co_u32_e32 v37, vcc, v30, v37, vcc
	global_load_dwordx4 v[36:39], v[36:37], off
	v_mov_b32_e32 v40, v21
	v_lshlrev_b64 v[20:21], 3, v[40:41]
	v_add_co_u32_e32 v20, vcc, v29, v20
	v_addc_co_u32_e32 v21, vcc, v30, v21, vcc
	global_load_dwordx4 v[40:43], v[20:21], off
	v_ashrrev_i32_e32 v21, 31, v22
	v_mov_b32_e32 v20, v22
	v_lshlrev_b64 v[20:21], 3, v[20:21]
	v_add_co_u32_e32 v20, vcc, v29, v20
	v_addc_co_u32_e32 v21, vcc, v30, v21, vcc
	global_load_dwordx4 v[44:47], v[20:21], off
	v_ashrrev_i32_e32 v21, 31, v23
	v_mov_b32_e32 v20, v23
	v_lshlrev_b64 v[20:21], 3, v[20:21]
	v_add_co_u32_e32 v20, vcc, v29, v20
	v_addc_co_u32_e32 v21, vcc, v30, v21, vcc
	global_load_dwordx4 v[20:23], v[20:21], off
	ds_read_b128 v[48:51], v26 offset:16
	ds_read_b128 v[52:55], v28
	s_waitcnt lgkmcnt(1)
	v_ashrrev_i32_e32 v57, 31, v48
	v_mov_b32_e32 v56, v48
	v_lshlrev_b64 v[56:57], 3, v[56:57]
	s_waitcnt vmcnt(3) lgkmcnt(0)
	v_fma_f64 v[18:19], v[52:53], v[36:37], v[18:19]
	v_add_co_u32_e32 v36, vcc, v29, v56
	v_addc_co_u32_e32 v37, vcc, v30, v57, vcc
	global_load_dwordx4 v[56:59], v[36:37], off
	v_ashrrev_i32_e32 v37, 31, v49
	v_mov_b32_e32 v36, v49
	v_lshlrev_b64 v[36:37], 3, v[36:37]
	v_fma_f64 v[18:19], v[54:55], v[38:39], v[18:19]
	v_add_co_u32_e32 v36, vcc, v29, v36
	v_ashrrev_i32_e32 v39, 31, v50
	v_mov_b32_e32 v38, v50
	v_addc_co_u32_e32 v37, vcc, v30, v37, vcc
	v_lshlrev_b64 v[48:49], 3, v[38:39]
	global_load_dwordx4 v[36:39], v[36:37], off
	ds_read2_b64 v[52:55], v28 offset0:3 offset1:4
	v_add_co_u32_e64 v48, s[4:5], v29, v48
	v_addc_co_u32_e64 v49, vcc, v30, v49, s[4:5]
	s_waitcnt vmcnt(4) lgkmcnt(0)
	v_fma_f64 v[18:19], v[52:53], v[40:41], v[18:19]
	v_fma_f64 v[18:19], v[54:55], v[42:43], v[18:19]
	global_load_dwordx4 v[40:43], v[48:49], off
	ds_read_b128 v[52:55], v28 offset:48
	v_ashrrev_i32_e32 v49, 31, v51
	v_mov_b32_e32 v48, v51
	v_lshlrev_b64 v[48:49], 3, v[48:49]
	v_add_co_u32_e32 v48, vcc, v29, v48
	v_addc_co_u32_e32 v49, vcc, v30, v49, vcc
	s_waitcnt vmcnt(4) lgkmcnt(0)
	v_fma_f64 v[18:19], v[52:53], v[44:45], v[18:19]
	global_load_dwordx4 v[48:51], v[48:49], off
	v_fma_f64 v[18:19], v[54:55], v[46:47], v[18:19]
	ds_read2_b64 v[44:47], v28 offset0:9 offset1:10
	s_waitcnt vmcnt(4) lgkmcnt(0)
	v_fma_f64 v[18:19], v[44:45], v[20:21], v[18:19]
	v_fma_f64 v[22:23], v[46:47], v[22:23], v[18:19]
	ds_read_b128 v[18:21], v28 offset:96
	s_waitcnt vmcnt(3) lgkmcnt(0)
	v_fma_f64 v[18:19], v[18:19], v[56:57], v[22:23]
	v_fma_f64 v[22:23], v[20:21], v[58:59], v[18:19]
	ds_read2_b64 v[18:21], v28 offset0:15 offset1:16
	s_waitcnt vmcnt(2) lgkmcnt(0)
	v_fma_f64 v[18:19], v[18:19], v[36:37], v[22:23]
	v_fma_f64 v[22:23], v[20:21], v[38:39], v[18:19]
	ds_read_b128 v[18:21], v28 offset:144
	s_waitcnt vmcnt(1) lgkmcnt(0)
	v_fma_f64 v[18:19], v[18:19], v[40:41], v[22:23]
	v_fma_f64 v[22:23], v[20:21], v[42:43], v[18:19]
	ds_read2_b64 v[18:21], v28 offset0:21 offset1:22
	s_waitcnt vmcnt(0) lgkmcnt(0)
	v_fma_f64 v[18:19], v[18:19], v[48:49], v[22:23]
	v_fma_f64 v[18:19], v[20:21], v[50:51], v[18:19]
	s_branch .LBB4_10
.LBB4_15:                               ;   in Loop: Header=BB4_8 Depth=1
	s_or_b64 exec, exec, s[18:19]
.LBB4_16:                               ;   in Loop: Header=BB4_8 Depth=1
	s_or_b64 exec, exec, s[12:13]
	s_and_saveexec_b64 s[4:5], s[0:1]
	s_cbranch_execz .LBB4_7
; %bb.17:                               ;   in Loop: Header=BB4_8 Depth=1
	v_mul_f64 v[0:1], v[4:5], v[18:19]
	s_and_saveexec_b64 s[12:13], s[2:3]
	s_xor_b64 s[12:13], exec, s[12:13]
	s_cbranch_execz .LBB4_22
; %bb.18:                               ;   in Loop: Header=BB4_8 Depth=1
	s_mov_b64 s[18:19], -1
	s_and_b64 vcc, exec, s[6:7]
	s_cbranch_vccz .LBB4_20
; %bb.19:                               ;   in Loop: Header=BB4_8 Depth=1
	global_load_dwordx2 v[2:3], v[10:11], off
	s_mov_b64 s[18:19], 0
	s_waitcnt vmcnt(0)
	v_fma_f64 v[2:3], v[6:7], v[2:3], v[0:1]
	global_store_dwordx2 v[10:11], v[2:3], off
.LBB4_20:                               ;   in Loop: Header=BB4_8 Depth=1
	s_andn2_b64 vcc, exec, s[18:19]
	s_cbranch_vccnz .LBB4_22
; %bb.21:                               ;   in Loop: Header=BB4_8 Depth=1
	global_load_dwordx2 v[2:3], v[12:13], off
	s_waitcnt vmcnt(0)
	v_fma_f64 v[0:1], v[6:7], v[2:3], v[0:1]
	global_store_dwordx2 v[12:13], v[0:1], off
                                        ; implicit-def: $vgpr0_vgpr1
.LBB4_22:                               ;   in Loop: Header=BB4_8 Depth=1
	s_andn2_saveexec_b64 s[12:13], s[12:13]
	s_cbranch_execz .LBB4_7
; %bb.23:                               ;   in Loop: Header=BB4_8 Depth=1
	s_mov_b64 s[12:13], -1
	s_and_b64 vcc, exec, s[6:7]
	s_cbranch_vccz .LBB4_25
; %bb.24:                               ;   in Loop: Header=BB4_8 Depth=1
	global_store_dwordx2 v[10:11], v[0:1], off
	s_mov_b64 s[12:13], 0
.LBB4_25:                               ;   in Loop: Header=BB4_8 Depth=1
	s_andn2_b64 vcc, exec, s[12:13]
	s_cbranch_vccnz .LBB4_7
; %bb.26:                               ;   in Loop: Header=BB4_8 Depth=1
	global_store_dwordx2 v[12:13], v[0:1], off
	s_branch .LBB4_7
.LBB4_27:
	s_endpgm
	.section	.rodata,"a",@progbits
	.p2align	6, 0x0
	.amdhsa_kernel _ZN9rocsparseL29bsrmmnn_small_blockdim_kernelILj64ELj8ELj2EliddddEEv20rocsparse_direction_T3_S2_llNS_24const_host_device_scalarIT7_EEPKT2_PKS2_PKT4_PKT5_llS5_PT6_ll16rocsparse_order_21rocsparse_index_base_b
		.amdhsa_group_segment_fixed_size 1792
		.amdhsa_private_segment_fixed_size 0
		.amdhsa_kernarg_size 392
		.amdhsa_user_sgpr_count 6
		.amdhsa_user_sgpr_private_segment_buffer 1
		.amdhsa_user_sgpr_dispatch_ptr 0
		.amdhsa_user_sgpr_queue_ptr 0
		.amdhsa_user_sgpr_kernarg_segment_ptr 1
		.amdhsa_user_sgpr_dispatch_id 0
		.amdhsa_user_sgpr_flat_scratch_init 0
		.amdhsa_user_sgpr_private_segment_size 0
		.amdhsa_uses_dynamic_stack 0
		.amdhsa_system_sgpr_private_segment_wavefront_offset 0
		.amdhsa_system_sgpr_workgroup_id_x 1
		.amdhsa_system_sgpr_workgroup_id_y 1
		.amdhsa_system_sgpr_workgroup_id_z 0
		.amdhsa_system_sgpr_workgroup_info 0
		.amdhsa_system_vgpr_workitem_id 0
		.amdhsa_next_free_vgpr 60
		.amdhsa_next_free_sgpr 61
		.amdhsa_reserve_vcc 1
		.amdhsa_reserve_flat_scratch 0
		.amdhsa_float_round_mode_32 0
		.amdhsa_float_round_mode_16_64 0
		.amdhsa_float_denorm_mode_32 3
		.amdhsa_float_denorm_mode_16_64 3
		.amdhsa_dx10_clamp 1
		.amdhsa_ieee_mode 1
		.amdhsa_fp16_overflow 0
		.amdhsa_exception_fp_ieee_invalid_op 0
		.amdhsa_exception_fp_denorm_src 0
		.amdhsa_exception_fp_ieee_div_zero 0
		.amdhsa_exception_fp_ieee_overflow 0
		.amdhsa_exception_fp_ieee_underflow 0
		.amdhsa_exception_fp_ieee_inexact 0
		.amdhsa_exception_int_div_zero 0
	.end_amdhsa_kernel
	.section	.text._ZN9rocsparseL29bsrmmnn_small_blockdim_kernelILj64ELj8ELj2EliddddEEv20rocsparse_direction_T3_S2_llNS_24const_host_device_scalarIT7_EEPKT2_PKS2_PKT4_PKT5_llS5_PT6_ll16rocsparse_order_21rocsparse_index_base_b,"axG",@progbits,_ZN9rocsparseL29bsrmmnn_small_blockdim_kernelILj64ELj8ELj2EliddddEEv20rocsparse_direction_T3_S2_llNS_24const_host_device_scalarIT7_EEPKT2_PKS2_PKT4_PKT5_llS5_PT6_ll16rocsparse_order_21rocsparse_index_base_b,comdat
.Lfunc_end4:
	.size	_ZN9rocsparseL29bsrmmnn_small_blockdim_kernelILj64ELj8ELj2EliddddEEv20rocsparse_direction_T3_S2_llNS_24const_host_device_scalarIT7_EEPKT2_PKS2_PKT4_PKT5_llS5_PT6_ll16rocsparse_order_21rocsparse_index_base_b, .Lfunc_end4-_ZN9rocsparseL29bsrmmnn_small_blockdim_kernelILj64ELj8ELj2EliddddEEv20rocsparse_direction_T3_S2_llNS_24const_host_device_scalarIT7_EEPKT2_PKS2_PKT4_PKT5_llS5_PT6_ll16rocsparse_order_21rocsparse_index_base_b
                                        ; -- End function
	.set _ZN9rocsparseL29bsrmmnn_small_blockdim_kernelILj64ELj8ELj2EliddddEEv20rocsparse_direction_T3_S2_llNS_24const_host_device_scalarIT7_EEPKT2_PKS2_PKT4_PKT5_llS5_PT6_ll16rocsparse_order_21rocsparse_index_base_b.num_vgpr, 60
	.set _ZN9rocsparseL29bsrmmnn_small_blockdim_kernelILj64ELj8ELj2EliddddEEv20rocsparse_direction_T3_S2_llNS_24const_host_device_scalarIT7_EEPKT2_PKS2_PKT4_PKT5_llS5_PT6_ll16rocsparse_order_21rocsparse_index_base_b.num_agpr, 0
	.set _ZN9rocsparseL29bsrmmnn_small_blockdim_kernelILj64ELj8ELj2EliddddEEv20rocsparse_direction_T3_S2_llNS_24const_host_device_scalarIT7_EEPKT2_PKS2_PKT4_PKT5_llS5_PT6_ll16rocsparse_order_21rocsparse_index_base_b.numbered_sgpr, 29
	.set _ZN9rocsparseL29bsrmmnn_small_blockdim_kernelILj64ELj8ELj2EliddddEEv20rocsparse_direction_T3_S2_llNS_24const_host_device_scalarIT7_EEPKT2_PKS2_PKT4_PKT5_llS5_PT6_ll16rocsparse_order_21rocsparse_index_base_b.num_named_barrier, 0
	.set _ZN9rocsparseL29bsrmmnn_small_blockdim_kernelILj64ELj8ELj2EliddddEEv20rocsparse_direction_T3_S2_llNS_24const_host_device_scalarIT7_EEPKT2_PKS2_PKT4_PKT5_llS5_PT6_ll16rocsparse_order_21rocsparse_index_base_b.private_seg_size, 0
	.set _ZN9rocsparseL29bsrmmnn_small_blockdim_kernelILj64ELj8ELj2EliddddEEv20rocsparse_direction_T3_S2_llNS_24const_host_device_scalarIT7_EEPKT2_PKS2_PKT4_PKT5_llS5_PT6_ll16rocsparse_order_21rocsparse_index_base_b.uses_vcc, 1
	.set _ZN9rocsparseL29bsrmmnn_small_blockdim_kernelILj64ELj8ELj2EliddddEEv20rocsparse_direction_T3_S2_llNS_24const_host_device_scalarIT7_EEPKT2_PKS2_PKT4_PKT5_llS5_PT6_ll16rocsparse_order_21rocsparse_index_base_b.uses_flat_scratch, 0
	.set _ZN9rocsparseL29bsrmmnn_small_blockdim_kernelILj64ELj8ELj2EliddddEEv20rocsparse_direction_T3_S2_llNS_24const_host_device_scalarIT7_EEPKT2_PKS2_PKT4_PKT5_llS5_PT6_ll16rocsparse_order_21rocsparse_index_base_b.has_dyn_sized_stack, 0
	.set _ZN9rocsparseL29bsrmmnn_small_blockdim_kernelILj64ELj8ELj2EliddddEEv20rocsparse_direction_T3_S2_llNS_24const_host_device_scalarIT7_EEPKT2_PKS2_PKT4_PKT5_llS5_PT6_ll16rocsparse_order_21rocsparse_index_base_b.has_recursion, 0
	.set _ZN9rocsparseL29bsrmmnn_small_blockdim_kernelILj64ELj8ELj2EliddddEEv20rocsparse_direction_T3_S2_llNS_24const_host_device_scalarIT7_EEPKT2_PKS2_PKT4_PKT5_llS5_PT6_ll16rocsparse_order_21rocsparse_index_base_b.has_indirect_call, 0
	.section	.AMDGPU.csdata,"",@progbits
; Kernel info:
; codeLenInByte = 1616
; TotalNumSgprs: 33
; NumVgprs: 60
; ScratchSize: 0
; MemoryBound: 0
; FloatMode: 240
; IeeeMode: 1
; LDSByteSize: 1792 bytes/workgroup (compile time only)
; SGPRBlocks: 8
; VGPRBlocks: 14
; NumSGPRsForWavesPerEU: 65
; NumVGPRsForWavesPerEU: 60
; Occupancy: 4
; WaveLimiterHint : 1
; COMPUTE_PGM_RSRC2:SCRATCH_EN: 0
; COMPUTE_PGM_RSRC2:USER_SGPR: 6
; COMPUTE_PGM_RSRC2:TRAP_HANDLER: 0
; COMPUTE_PGM_RSRC2:TGID_X_EN: 1
; COMPUTE_PGM_RSRC2:TGID_Y_EN: 1
; COMPUTE_PGM_RSRC2:TGID_Z_EN: 0
; COMPUTE_PGM_RSRC2:TIDIG_COMP_CNT: 0
	.section	.text._ZN9rocsparseL29bsrmmnn_small_blockdim_kernelILj64ELj8ELj2EllddddEEv20rocsparse_direction_T3_S2_llNS_24const_host_device_scalarIT7_EEPKT2_PKS2_PKT4_PKT5_llS5_PT6_ll16rocsparse_order_21rocsparse_index_base_b,"axG",@progbits,_ZN9rocsparseL29bsrmmnn_small_blockdim_kernelILj64ELj8ELj2EllddddEEv20rocsparse_direction_T3_S2_llNS_24const_host_device_scalarIT7_EEPKT2_PKS2_PKT4_PKT5_llS5_PT6_ll16rocsparse_order_21rocsparse_index_base_b,comdat
	.globl	_ZN9rocsparseL29bsrmmnn_small_blockdim_kernelILj64ELj8ELj2EllddddEEv20rocsparse_direction_T3_S2_llNS_24const_host_device_scalarIT7_EEPKT2_PKS2_PKT4_PKT5_llS5_PT6_ll16rocsparse_order_21rocsparse_index_base_b ; -- Begin function _ZN9rocsparseL29bsrmmnn_small_blockdim_kernelILj64ELj8ELj2EllddddEEv20rocsparse_direction_T3_S2_llNS_24const_host_device_scalarIT7_EEPKT2_PKS2_PKT4_PKT5_llS5_PT6_ll16rocsparse_order_21rocsparse_index_base_b
	.p2align	8
	.type	_ZN9rocsparseL29bsrmmnn_small_blockdim_kernelILj64ELj8ELj2EllddddEEv20rocsparse_direction_T3_S2_llNS_24const_host_device_scalarIT7_EEPKT2_PKS2_PKT4_PKT5_llS5_PT6_ll16rocsparse_order_21rocsparse_index_base_b,@function
_ZN9rocsparseL29bsrmmnn_small_blockdim_kernelILj64ELj8ELj2EllddddEEv20rocsparse_direction_T3_S2_llNS_24const_host_device_scalarIT7_EEPKT2_PKS2_PKT4_PKT5_llS5_PT6_ll16rocsparse_order_21rocsparse_index_base_b: ; @_ZN9rocsparseL29bsrmmnn_small_blockdim_kernelILj64ELj8ELj2EllddddEEv20rocsparse_direction_T3_S2_llNS_24const_host_device_scalarIT7_EEPKT2_PKS2_PKT4_PKT5_llS5_PT6_ll16rocsparse_order_21rocsparse_index_base_b
; %bb.0:
	s_load_dwordx4 s[20:23], s[4:5], 0x80
	s_load_dwordx2 s[8:9], s[4:5], 0x28
	s_load_dwordx2 s[0:1], s[4:5], 0x60
	s_waitcnt lgkmcnt(0)
	s_bitcmp1_b32 s22, 0
	s_cselect_b64 s[10:11], -1, 0
	v_mov_b32_e32 v4, s8
	s_xor_b64 s[2:3], s[10:11], -1
	s_and_b64 vcc, exec, s[10:11]
	v_mov_b32_e32 v5, s9
	s_cbranch_vccnz .LBB5_2
; %bb.1:
	v_mov_b32_e32 v1, s8
	v_mov_b32_e32 v2, s9
	flat_load_dwordx2 v[4:5], v[1:2]
.LBB5_2:
	v_mov_b32_e32 v7, s1
	s_andn2_b64 vcc, exec, s[2:3]
	v_mov_b32_e32 v6, s0
	s_cbranch_vccnz .LBB5_4
; %bb.3:
	v_mov_b32_e32 v2, s1
	v_mov_b32_e32 v1, s0
	flat_load_dwordx2 v[6:7], v[1:2]
.LBB5_4:
	s_waitcnt vmcnt(0) lgkmcnt(0)
	v_cmp_neq_f64_e32 vcc, 0, v[4:5]
	v_cmp_neq_f64_e64 s[0:1], 1.0, v[6:7]
	s_or_b64 s[0:1], vcc, s[0:1]
	s_and_saveexec_b64 s[2:3], s[0:1]
	s_cbranch_execz .LBB5_27
; %bb.5:
	s_load_dword s0, s[4:5], 0x90
	s_load_dwordx4 s[16:19], s[4:5], 0x8
	s_add_u32 s1, s4, 0x90
	s_addc_u32 s3, s5, 0
	v_mov_b32_e32 v9, 0
	s_waitcnt lgkmcnt(0)
	s_cmp_lt_u32 s6, s0
	s_cselect_b32 s2, 12, 18
	s_add_u32 s2, s1, s2
	s_addc_u32 s3, s3, 0
	global_load_ushort v2, v9, s[2:3]
	s_waitcnt vmcnt(0)
	v_mul_lo_u32 v1, s6, v2
	v_add_u32_e32 v1, v1, v0
	v_lshrrev_b32_e32 v8, 4, v1
	v_cmp_gt_i64_e32 vcc, s[16:17], v[8:9]
	s_and_b64 exec, exec, vcc
	s_cbranch_execz .LBB5_27
; %bb.6:
	s_load_dwordx2 s[2:3], s[4:5], 0x50
	s_load_dwordx4 s[24:27], s[4:5], 0x68
	v_and_b32_e32 v26, 7, v1
	v_lshl_or_b32 v10, s7, 3, v26
	v_mul_lo_u32 v12, s0, v2
	s_waitcnt lgkmcnt(0)
	v_mad_u64_u32 v[14:15], s[6:7], s2, v10, 0
	s_load_dwordx8 s[8:15], s[4:5], 0x30
	v_mov_b32_e32 v11, v9
	v_mov_b32_e32 v2, v15
	v_mad_u64_u32 v[2:3], s[0:1], s3, v10, v[2:3]
	s_load_dword s0, s[4:5], 0x0
	v_lshrrev_b32_e32 v27, 4, v12
	v_mov_b32_e32 v15, v2
	v_lshlrev_b64 v[2:3], 3, v[10:11]
	v_mov_b32_e32 v12, s25
	v_add_co_u32_e32 v18, vcc, s24, v2
	v_addc_co_u32_e32 v19, vcc, v12, v3, vcc
	v_and_b32_e32 v13, 8, v1
	s_waitcnt lgkmcnt(0)
	v_mov_b32_e32 v2, s13
	v_add_co_u32_e32 v20, vcc, s12, v13
	v_lshrrev_b32_e32 v12, 3, v1
	v_lshrrev_b32_e32 v0, 3, v0
	v_addc_co_u32_e32 v21, vcc, 0, v2, vcc
	v_mov_b32_e32 v2, 0x600
	s_cmp_lg_u32 s20, 1
	v_lshl_or_b32 v28, v0, 6, v2
	s_cselect_b64 s[6:7], -1, 0
	s_cmp_eq_u32 s0, 0
	v_mad_u64_u32 v[2:3], s[0:1], v12, s26, 0
	v_mul_u32_u24_e32 v30, 0xc0, v0
	v_cmp_gt_i64_e64 s[0:1], s[18:19], v[10:11]
	v_mov_b32_e32 v0, v3
	v_mad_u64_u32 v[11:12], s[2:3], v12, s27, v[0:1]
	v_add_co_u32_e32 v23, vcc, v20, v13
	v_mad_u64_u32 v[12:13], s[2:3], s26, v10, 0
	v_mov_b32_e32 v3, v11
	v_lshlrev_b64 v[2:3], 3, v[2:3]
	v_mov_b32_e32 v0, v13
	v_mad_u64_u32 v[16:17], s[4:5], s27, v10, v[0:1]
	v_addc_co_u32_e32 v24, vcc, 0, v21, vcc
	v_add_co_u32_e32 v10, vcc, v18, v2
	v_addc_co_u32_e32 v11, vcc, v19, v3, vcc
	v_and_b32_e32 v0, -8, v1
	v_mov_b32_e32 v13, v16
	v_mov_b32_e32 v1, s25
	v_add_co_u32_e32 v2, vcc, s24, v0
	v_addc_co_u32_e32 v3, vcc, 0, v1, vcc
	v_lshlrev_b64 v[0:1], 3, v[12:13]
	v_cmp_neq_f64_e64 s[2:3], 0, v[6:7]
	v_add_co_u32_e32 v12, vcc, v2, v0
	v_addc_co_u32_e32 v13, vcc, v3, v1, vcc
	v_lshlrev_b64 v[0:1], 3, v[14:15]
	s_cselect_b64 vcc, -1, 0
	v_cndmask_b32_e32 v31, v21, v24, vcc
	v_cndmask_b32_e32 v32, v20, v23, vcc
	s_and_b64 s[4:5], vcc, exec
	v_mov_b32_e32 v2, s15
	v_add_co_u32_e32 v33, vcc, s14, v0
	v_addc_co_u32_e32 v34, vcc, v2, v1, vcc
	v_mul_u32_u24_e32 v22, 24, v26
	v_subrev_co_u32_e32 v35, vcc, s21, v26
	s_mov_b32 s22, s21
	v_lshl_or_b32 v29, v26, 3, v28
	s_mov_b64 s[12:13], 0
	s_cselect_b32 s23, 8, 16
	v_subb_co_u32_e64 v36, s[4:5], 0, 0, vcc
	v_add_u32_e32 v37, v30, v22
	s_branch .LBB5_8
.LBB5_7:                                ;   in Loop: Header=BB5_8 Depth=1
	s_or_b64 exec, exec, s[4:5]
	v_add_co_u32_e32 v8, vcc, v8, v27
	v_addc_co_u32_e32 v9, vcc, 0, v9, vcc
	v_cmp_le_i64_e32 vcc, s[16:17], v[8:9]
	s_or_b64 s[12:13], vcc, s[12:13]
	s_andn2_b64 exec, exec, s[12:13]
	s_cbranch_execz .LBB5_27
.LBB5_8:                                ; =>This Loop Header: Depth=1
                                        ;     Child Loop BB5_11 Depth 2
	v_lshlrev_b64 v[0:1], 3, v[8:9]
	v_mov_b32_e32 v2, s9
	v_add_co_u32_e32 v0, vcc, s8, v0
	v_addc_co_u32_e32 v1, vcc, v2, v1, vcc
	global_load_dwordx4 v[0:3], v[0:1], off
	v_mov_b32_e32 v18, 0
	v_mov_b32_e32 v19, 0
	s_waitcnt vmcnt(0)
	v_cmp_lt_i64_e32 vcc, v[0:1], v[2:3]
	s_and_saveexec_b64 s[14:15], vcc
	s_cbranch_execz .LBB5_16
; %bb.9:                                ;   in Loop: Header=BB5_8 Depth=1
	v_subrev_co_u32_e32 v2, vcc, s22, v2
	v_subbrev_co_u32_e32 v3, vcc, 0, v3, vcc
	v_subrev_co_u32_e32 v14, vcc, s22, v0
	v_subbrev_co_u32_e32 v15, vcc, 0, v1, vcc
	v_add_co_u32_e32 v16, vcc, v35, v0
	v_addc_co_u32_e32 v17, vcc, v36, v1, vcc
	v_lshlrev_b64 v[0:1], 3, v[16:17]
	v_mov_b32_e32 v18, s11
	v_add_co_u32_e32 v0, vcc, s10, v0
	v_lshlrev_b64 v[16:17], 5, v[16:17]
	v_addc_co_u32_e32 v1, vcc, v18, v1, vcc
	v_add_co_u32_e32 v16, vcc, v32, v16
	v_mov_b32_e32 v18, 0
	v_addc_co_u32_e32 v17, vcc, v31, v17, vcc
	v_mov_b32_e32 v19, 0
	s_mov_b64 s[18:19], 0
	s_branch .LBB5_11
.LBB5_10:                               ;   in Loop: Header=BB5_11 Depth=2
	s_or_b64 exec, exec, s[20:21]
	v_add_co_u32_e32 v14, vcc, 8, v14
	v_addc_co_u32_e32 v15, vcc, 0, v15, vcc
	v_add_co_u32_e32 v0, vcc, 64, v0
	v_addc_co_u32_e32 v1, vcc, 0, v1, vcc
	v_cmp_ge_i64_e64 s[4:5], v[14:15], v[2:3]
	v_add_co_u32_e32 v16, vcc, 0x100, v16
	s_or_b64 s[18:19], s[4:5], s[18:19]
	v_addc_co_u32_e32 v17, vcc, 0, v17, vcc
	s_andn2_b64 exec, exec, s[18:19]
	s_cbranch_execz .LBB5_15
.LBB5_11:                               ;   Parent Loop BB5_8 Depth=1
                                        ; =>  This Inner Loop Header: Depth=2
	v_add_co_u32_e32 v20, vcc, v26, v14
	v_addc_co_u32_e32 v21, vcc, 0, v15, vcc
	v_cmp_lt_i64_e32 vcc, v[20:21], v[2:3]
	v_mov_b32_e32 v24, 0
	v_mov_b32_e32 v20, 0
	v_mov_b32_e32 v22, 0
	v_mov_b32_e32 v25, 0
	v_mov_b32_e32 v21, 0
	v_mov_b32_e32 v23, 0
	s_and_saveexec_b64 s[4:5], vcc
	s_cbranch_execz .LBB5_13
; %bb.12:                               ;   in Loop: Header=BB5_11 Depth=2
	global_load_dwordx2 v[24:25], v[0:1], off
	v_add_co_u32_e32 v38, vcc, s23, v16
	v_addc_co_u32_e32 v39, vcc, 0, v17, vcc
	global_load_dwordx2 v[20:21], v[16:17], off
	global_load_dwordx2 v[22:23], v[38:39], off
	s_waitcnt vmcnt(2)
	v_subrev_co_u32_e32 v24, vcc, s22, v24
	v_subbrev_co_u32_e32 v25, vcc, 0, v25, vcc
	v_lshlrev_b64 v[24:25], 1, v[24:25]
.LBB5_13:                               ;   in Loop: Header=BB5_11 Depth=2
	s_or_b64 exec, exec, s[4:5]
	ds_write_b64 v29, v[24:25]
	s_waitcnt vmcnt(0)
	ds_write2_b64 v37, v[20:21], v[22:23] offset1:1
	s_waitcnt lgkmcnt(0)
	; wave barrier
	s_and_saveexec_b64 s[20:21], s[0:1]
	s_cbranch_execz .LBB5_10
; %bb.14:                               ;   in Loop: Header=BB5_11 Depth=2
	ds_read_b128 v[20:23], v28
	ds_read_b128 v[42:45], v28 offset:16
	s_waitcnt lgkmcnt(1)
	v_lshlrev_b64 v[20:21], 3, v[20:21]
	s_waitcnt lgkmcnt(0)
	v_lshlrev_b64 v[24:25], 3, v[42:43]
	v_add_co_u32_e32 v20, vcc, v33, v20
	v_addc_co_u32_e32 v21, vcc, v34, v21, vcc
	global_load_dwordx4 v[38:41], v[20:21], off
	v_lshlrev_b64 v[20:21], 3, v[22:23]
	v_add_co_u32_e32 v20, vcc, v33, v20
	v_addc_co_u32_e32 v21, vcc, v34, v21, vcc
	global_load_dwordx4 v[20:23], v[20:21], off
	v_add_co_u32_e32 v24, vcc, v33, v24
	v_addc_co_u32_e32 v25, vcc, v34, v25, vcc
	global_load_dwordx4 v[46:49], v[24:25], off
	v_lshlrev_b64 v[24:25], 3, v[44:45]
	v_add_co_u32_e32 v24, vcc, v33, v24
	v_addc_co_u32_e32 v25, vcc, v34, v25, vcc
	global_load_dwordx4 v[42:45], v[24:25], off
	ds_read_b128 v[50:53], v28 offset:32
	ds_read_b128 v[54:57], v30
	s_waitcnt lgkmcnt(1)
	v_lshlrev_b64 v[24:25], 3, v[50:51]
	v_add_co_u32_e32 v24, vcc, v33, v24
	v_addc_co_u32_e32 v25, vcc, v34, v25, vcc
	global_load_dwordx4 v[58:61], v[24:25], off
	v_lshlrev_b64 v[24:25], 3, v[52:53]
	ds_read_b128 v[50:53], v28 offset:48
	v_add_co_u32_e32 v24, vcc, v33, v24
	v_addc_co_u32_e32 v25, vcc, v34, v25, vcc
	s_waitcnt vmcnt(4) lgkmcnt(1)
	v_fma_f64 v[18:19], v[54:55], v[38:39], v[18:19]
	v_fma_f64 v[18:19], v[56:57], v[40:41], v[18:19]
	global_load_dwordx4 v[38:41], v[24:25], off
	ds_read2_b64 v[54:57], v30 offset0:3 offset1:4
	s_waitcnt lgkmcnt(1)
	v_lshlrev_b64 v[50:51], 3, v[50:51]
	v_add_co_u32_e64 v50, s[4:5], v33, v50
	v_addc_co_u32_e64 v51, vcc, v34, v51, s[4:5]
	s_waitcnt vmcnt(4) lgkmcnt(0)
	v_fma_f64 v[18:19], v[54:55], v[20:21], v[18:19]
	v_fma_f64 v[54:55], v[56:57], v[22:23], v[18:19]
	global_load_dwordx4 v[18:21], v[50:51], off
	ds_read_b128 v[22:25], v30 offset:48
	v_lshlrev_b64 v[50:51], 3, v[52:53]
	v_add_co_u32_e32 v50, vcc, v33, v50
	v_addc_co_u32_e32 v51, vcc, v34, v51, vcc
	s_waitcnt vmcnt(4) lgkmcnt(0)
	v_fma_f64 v[22:23], v[22:23], v[46:47], v[54:55]
	global_load_dwordx4 v[50:53], v[50:51], off
	v_fma_f64 v[46:47], v[24:25], v[48:49], v[22:23]
	ds_read2_b64 v[22:25], v30 offset0:9 offset1:10
	s_waitcnt vmcnt(4) lgkmcnt(0)
	v_fma_f64 v[22:23], v[22:23], v[42:43], v[46:47]
	v_fma_f64 v[42:43], v[24:25], v[44:45], v[22:23]
	ds_read_b128 v[22:25], v30 offset:96
	s_waitcnt vmcnt(3) lgkmcnt(0)
	v_fma_f64 v[22:23], v[22:23], v[58:59], v[42:43]
	v_fma_f64 v[42:43], v[24:25], v[60:61], v[22:23]
	ds_read2_b64 v[22:25], v30 offset0:15 offset1:16
	s_waitcnt vmcnt(2) lgkmcnt(0)
	v_fma_f64 v[22:23], v[22:23], v[38:39], v[42:43]
	v_fma_f64 v[38:39], v[24:25], v[40:41], v[22:23]
	ds_read_b128 v[22:25], v30 offset:144
	s_waitcnt vmcnt(1) lgkmcnt(0)
	v_fma_f64 v[18:19], v[22:23], v[18:19], v[38:39]
	v_fma_f64 v[22:23], v[24:25], v[20:21], v[18:19]
	ds_read2_b64 v[18:21], v30 offset0:21 offset1:22
	s_waitcnt vmcnt(0) lgkmcnt(0)
	v_fma_f64 v[18:19], v[18:19], v[50:51], v[22:23]
	v_fma_f64 v[18:19], v[20:21], v[52:53], v[18:19]
	s_branch .LBB5_10
.LBB5_15:                               ;   in Loop: Header=BB5_8 Depth=1
	s_or_b64 exec, exec, s[18:19]
.LBB5_16:                               ;   in Loop: Header=BB5_8 Depth=1
	s_or_b64 exec, exec, s[14:15]
	s_and_saveexec_b64 s[4:5], s[0:1]
	s_cbranch_execz .LBB5_7
; %bb.17:                               ;   in Loop: Header=BB5_8 Depth=1
	v_mul_f64 v[0:1], v[4:5], v[18:19]
	s_and_saveexec_b64 s[14:15], s[2:3]
	s_xor_b64 s[14:15], exec, s[14:15]
	s_cbranch_execz .LBB5_22
; %bb.18:                               ;   in Loop: Header=BB5_8 Depth=1
	s_mov_b64 s[18:19], -1
	s_and_b64 vcc, exec, s[6:7]
	s_cbranch_vccz .LBB5_20
; %bb.19:                               ;   in Loop: Header=BB5_8 Depth=1
	global_load_dwordx2 v[2:3], v[10:11], off
	s_mov_b64 s[18:19], 0
	s_waitcnt vmcnt(0)
	v_fma_f64 v[2:3], v[6:7], v[2:3], v[0:1]
	global_store_dwordx2 v[10:11], v[2:3], off
.LBB5_20:                               ;   in Loop: Header=BB5_8 Depth=1
	s_andn2_b64 vcc, exec, s[18:19]
	s_cbranch_vccnz .LBB5_22
; %bb.21:                               ;   in Loop: Header=BB5_8 Depth=1
	global_load_dwordx2 v[2:3], v[12:13], off
	s_waitcnt vmcnt(0)
	v_fma_f64 v[0:1], v[6:7], v[2:3], v[0:1]
	global_store_dwordx2 v[12:13], v[0:1], off
                                        ; implicit-def: $vgpr0_vgpr1
.LBB5_22:                               ;   in Loop: Header=BB5_8 Depth=1
	s_andn2_saveexec_b64 s[14:15], s[14:15]
	s_cbranch_execz .LBB5_7
; %bb.23:                               ;   in Loop: Header=BB5_8 Depth=1
	s_mov_b64 s[14:15], -1
	s_and_b64 vcc, exec, s[6:7]
	s_cbranch_vccz .LBB5_25
; %bb.24:                               ;   in Loop: Header=BB5_8 Depth=1
	global_store_dwordx2 v[10:11], v[0:1], off
	s_mov_b64 s[14:15], 0
.LBB5_25:                               ;   in Loop: Header=BB5_8 Depth=1
	s_andn2_b64 vcc, exec, s[14:15]
	s_cbranch_vccnz .LBB5_7
; %bb.26:                               ;   in Loop: Header=BB5_8 Depth=1
	global_store_dwordx2 v[12:13], v[0:1], off
	s_branch .LBB5_7
.LBB5_27:
	s_endpgm
	.section	.rodata,"a",@progbits
	.p2align	6, 0x0
	.amdhsa_kernel _ZN9rocsparseL29bsrmmnn_small_blockdim_kernelILj64ELj8ELj2EllddddEEv20rocsparse_direction_T3_S2_llNS_24const_host_device_scalarIT7_EEPKT2_PKS2_PKT4_PKT5_llS5_PT6_ll16rocsparse_order_21rocsparse_index_base_b
		.amdhsa_group_segment_fixed_size 2048
		.amdhsa_private_segment_fixed_size 0
		.amdhsa_kernarg_size 400
		.amdhsa_user_sgpr_count 6
		.amdhsa_user_sgpr_private_segment_buffer 1
		.amdhsa_user_sgpr_dispatch_ptr 0
		.amdhsa_user_sgpr_queue_ptr 0
		.amdhsa_user_sgpr_kernarg_segment_ptr 1
		.amdhsa_user_sgpr_dispatch_id 0
		.amdhsa_user_sgpr_flat_scratch_init 0
		.amdhsa_user_sgpr_private_segment_size 0
		.amdhsa_uses_dynamic_stack 0
		.amdhsa_system_sgpr_private_segment_wavefront_offset 0
		.amdhsa_system_sgpr_workgroup_id_x 1
		.amdhsa_system_sgpr_workgroup_id_y 1
		.amdhsa_system_sgpr_workgroup_id_z 0
		.amdhsa_system_sgpr_workgroup_info 0
		.amdhsa_system_vgpr_workitem_id 0
		.amdhsa_next_free_vgpr 62
		.amdhsa_next_free_sgpr 61
		.amdhsa_reserve_vcc 1
		.amdhsa_reserve_flat_scratch 0
		.amdhsa_float_round_mode_32 0
		.amdhsa_float_round_mode_16_64 0
		.amdhsa_float_denorm_mode_32 3
		.amdhsa_float_denorm_mode_16_64 3
		.amdhsa_dx10_clamp 1
		.amdhsa_ieee_mode 1
		.amdhsa_fp16_overflow 0
		.amdhsa_exception_fp_ieee_invalid_op 0
		.amdhsa_exception_fp_denorm_src 0
		.amdhsa_exception_fp_ieee_div_zero 0
		.amdhsa_exception_fp_ieee_overflow 0
		.amdhsa_exception_fp_ieee_underflow 0
		.amdhsa_exception_fp_ieee_inexact 0
		.amdhsa_exception_int_div_zero 0
	.end_amdhsa_kernel
	.section	.text._ZN9rocsparseL29bsrmmnn_small_blockdim_kernelILj64ELj8ELj2EllddddEEv20rocsparse_direction_T3_S2_llNS_24const_host_device_scalarIT7_EEPKT2_PKS2_PKT4_PKT5_llS5_PT6_ll16rocsparse_order_21rocsparse_index_base_b,"axG",@progbits,_ZN9rocsparseL29bsrmmnn_small_blockdim_kernelILj64ELj8ELj2EllddddEEv20rocsparse_direction_T3_S2_llNS_24const_host_device_scalarIT7_EEPKT2_PKS2_PKT4_PKT5_llS5_PT6_ll16rocsparse_order_21rocsparse_index_base_b,comdat
.Lfunc_end5:
	.size	_ZN9rocsparseL29bsrmmnn_small_blockdim_kernelILj64ELj8ELj2EllddddEEv20rocsparse_direction_T3_S2_llNS_24const_host_device_scalarIT7_EEPKT2_PKS2_PKT4_PKT5_llS5_PT6_ll16rocsparse_order_21rocsparse_index_base_b, .Lfunc_end5-_ZN9rocsparseL29bsrmmnn_small_blockdim_kernelILj64ELj8ELj2EllddddEEv20rocsparse_direction_T3_S2_llNS_24const_host_device_scalarIT7_EEPKT2_PKS2_PKT4_PKT5_llS5_PT6_ll16rocsparse_order_21rocsparse_index_base_b
                                        ; -- End function
	.set _ZN9rocsparseL29bsrmmnn_small_blockdim_kernelILj64ELj8ELj2EllddddEEv20rocsparse_direction_T3_S2_llNS_24const_host_device_scalarIT7_EEPKT2_PKS2_PKT4_PKT5_llS5_PT6_ll16rocsparse_order_21rocsparse_index_base_b.num_vgpr, 62
	.set _ZN9rocsparseL29bsrmmnn_small_blockdim_kernelILj64ELj8ELj2EllddddEEv20rocsparse_direction_T3_S2_llNS_24const_host_device_scalarIT7_EEPKT2_PKS2_PKT4_PKT5_llS5_PT6_ll16rocsparse_order_21rocsparse_index_base_b.num_agpr, 0
	.set _ZN9rocsparseL29bsrmmnn_small_blockdim_kernelILj64ELj8ELj2EllddddEEv20rocsparse_direction_T3_S2_llNS_24const_host_device_scalarIT7_EEPKT2_PKS2_PKT4_PKT5_llS5_PT6_ll16rocsparse_order_21rocsparse_index_base_b.numbered_sgpr, 28
	.set _ZN9rocsparseL29bsrmmnn_small_blockdim_kernelILj64ELj8ELj2EllddddEEv20rocsparse_direction_T3_S2_llNS_24const_host_device_scalarIT7_EEPKT2_PKS2_PKT4_PKT5_llS5_PT6_ll16rocsparse_order_21rocsparse_index_base_b.num_named_barrier, 0
	.set _ZN9rocsparseL29bsrmmnn_small_blockdim_kernelILj64ELj8ELj2EllddddEEv20rocsparse_direction_T3_S2_llNS_24const_host_device_scalarIT7_EEPKT2_PKS2_PKT4_PKT5_llS5_PT6_ll16rocsparse_order_21rocsparse_index_base_b.private_seg_size, 0
	.set _ZN9rocsparseL29bsrmmnn_small_blockdim_kernelILj64ELj8ELj2EllddddEEv20rocsparse_direction_T3_S2_llNS_24const_host_device_scalarIT7_EEPKT2_PKS2_PKT4_PKT5_llS5_PT6_ll16rocsparse_order_21rocsparse_index_base_b.uses_vcc, 1
	.set _ZN9rocsparseL29bsrmmnn_small_blockdim_kernelILj64ELj8ELj2EllddddEEv20rocsparse_direction_T3_S2_llNS_24const_host_device_scalarIT7_EEPKT2_PKS2_PKT4_PKT5_llS5_PT6_ll16rocsparse_order_21rocsparse_index_base_b.uses_flat_scratch, 0
	.set _ZN9rocsparseL29bsrmmnn_small_blockdim_kernelILj64ELj8ELj2EllddddEEv20rocsparse_direction_T3_S2_llNS_24const_host_device_scalarIT7_EEPKT2_PKS2_PKT4_PKT5_llS5_PT6_ll16rocsparse_order_21rocsparse_index_base_b.has_dyn_sized_stack, 0
	.set _ZN9rocsparseL29bsrmmnn_small_blockdim_kernelILj64ELj8ELj2EllddddEEv20rocsparse_direction_T3_S2_llNS_24const_host_device_scalarIT7_EEPKT2_PKS2_PKT4_PKT5_llS5_PT6_ll16rocsparse_order_21rocsparse_index_base_b.has_recursion, 0
	.set _ZN9rocsparseL29bsrmmnn_small_blockdim_kernelILj64ELj8ELj2EllddddEEv20rocsparse_direction_T3_S2_llNS_24const_host_device_scalarIT7_EEPKT2_PKS2_PKT4_PKT5_llS5_PT6_ll16rocsparse_order_21rocsparse_index_base_b.has_indirect_call, 0
	.section	.AMDGPU.csdata,"",@progbits
; Kernel info:
; codeLenInByte = 1584
; TotalNumSgprs: 32
; NumVgprs: 62
; ScratchSize: 0
; MemoryBound: 0
; FloatMode: 240
; IeeeMode: 1
; LDSByteSize: 2048 bytes/workgroup (compile time only)
; SGPRBlocks: 8
; VGPRBlocks: 15
; NumSGPRsForWavesPerEU: 65
; NumVGPRsForWavesPerEU: 62
; Occupancy: 4
; WaveLimiterHint : 1
; COMPUTE_PGM_RSRC2:SCRATCH_EN: 0
; COMPUTE_PGM_RSRC2:USER_SGPR: 6
; COMPUTE_PGM_RSRC2:TRAP_HANDLER: 0
; COMPUTE_PGM_RSRC2:TGID_X_EN: 1
; COMPUTE_PGM_RSRC2:TGID_Y_EN: 1
; COMPUTE_PGM_RSRC2:TGID_Z_EN: 0
; COMPUTE_PGM_RSRC2:TIDIG_COMP_CNT: 0
	.section	.text._ZN9rocsparseL29bsrmmnn_small_blockdim_kernelILj64ELj8ELj2Eii21rocsparse_complex_numIfES2_S2_S2_EEv20rocsparse_direction_T3_S4_llNS_24const_host_device_scalarIT7_EEPKT2_PKS4_PKT4_PKT5_llS7_PT6_ll16rocsparse_order_21rocsparse_index_base_b,"axG",@progbits,_ZN9rocsparseL29bsrmmnn_small_blockdim_kernelILj64ELj8ELj2Eii21rocsparse_complex_numIfES2_S2_S2_EEv20rocsparse_direction_T3_S4_llNS_24const_host_device_scalarIT7_EEPKT2_PKS4_PKT4_PKT5_llS7_PT6_ll16rocsparse_order_21rocsparse_index_base_b,comdat
	.globl	_ZN9rocsparseL29bsrmmnn_small_blockdim_kernelILj64ELj8ELj2Eii21rocsparse_complex_numIfES2_S2_S2_EEv20rocsparse_direction_T3_S4_llNS_24const_host_device_scalarIT7_EEPKT2_PKS4_PKT4_PKT5_llS7_PT6_ll16rocsparse_order_21rocsparse_index_base_b ; -- Begin function _ZN9rocsparseL29bsrmmnn_small_blockdim_kernelILj64ELj8ELj2Eii21rocsparse_complex_numIfES2_S2_S2_EEv20rocsparse_direction_T3_S4_llNS_24const_host_device_scalarIT7_EEPKT2_PKS4_PKT4_PKT5_llS7_PT6_ll16rocsparse_order_21rocsparse_index_base_b
	.p2align	8
	.type	_ZN9rocsparseL29bsrmmnn_small_blockdim_kernelILj64ELj8ELj2Eii21rocsparse_complex_numIfES2_S2_S2_EEv20rocsparse_direction_T3_S4_llNS_24const_host_device_scalarIT7_EEPKT2_PKS4_PKT4_PKT5_llS7_PT6_ll16rocsparse_order_21rocsparse_index_base_b,@function
_ZN9rocsparseL29bsrmmnn_small_blockdim_kernelILj64ELj8ELj2Eii21rocsparse_complex_numIfES2_S2_S2_EEv20rocsparse_direction_T3_S4_llNS_24const_host_device_scalarIT7_EEPKT2_PKS4_PKT4_PKT5_llS7_PT6_ll16rocsparse_order_21rocsparse_index_base_b: ; @_ZN9rocsparseL29bsrmmnn_small_blockdim_kernelILj64ELj8ELj2Eii21rocsparse_complex_numIfES2_S2_S2_EEv20rocsparse_direction_T3_S4_llNS_24const_host_device_scalarIT7_EEPKT2_PKS4_PKT4_PKT5_llS7_PT6_ll16rocsparse_order_21rocsparse_index_base_b
; %bb.0:
	s_load_dwordx2 s[0:1], s[4:5], 0x20
	s_load_dwordx2 s[2:3], s[4:5], 0x58
	s_load_dwordx4 s[16:19], s[4:5], 0x78
	s_add_u32 s8, s4, 32
	s_addc_u32 s9, s5, 0
	s_add_u32 s10, s4, 0x58
	s_addc_u32 s11, s5, 0
	s_waitcnt lgkmcnt(0)
	s_bitcmp1_b32 s18, 0
	s_cselect_b32 s1, s9, s1
	s_cselect_b32 s0, s8, s0
	v_mov_b32_e32 v1, s0
	v_mov_b32_e32 v2, s1
	flat_load_dwordx2 v[1:2], v[1:2]
	s_cselect_b32 s0, s11, s3
	s_cselect_b32 s1, s10, s2
	v_mov_b32_e32 v3, s1
	v_mov_b32_e32 v4, s0
	flat_load_dwordx2 v[3:4], v[3:4]
	s_waitcnt vmcnt(0) lgkmcnt(0)
	v_cmp_eq_f32_e32 vcc, 0, v1
	v_cmp_eq_f32_e64 s[0:1], 0, v2
	s_and_b64 s[8:9], vcc, s[0:1]
	s_mov_b64 s[0:1], -1
	s_and_saveexec_b64 s[2:3], s[8:9]
; %bb.1:
	v_cmp_neq_f32_e32 vcc, 1.0, v3
	v_cmp_neq_f32_e64 s[0:1], 0, v4
	s_or_b64 s[0:1], vcc, s[0:1]
	s_orn2_b64 s[0:1], s[0:1], exec
; %bb.2:
	s_or_b64 exec, exec, s[2:3]
	s_and_saveexec_b64 s[2:3], s[0:1]
	s_cbranch_execz .LBB6_25
; %bb.3:
	s_load_dword s0, s[4:5], 0x88
	s_load_dwordx4 s[20:23], s[4:5], 0x0
	s_add_u32 s1, s4, 0x88
	s_addc_u32 s3, s5, 0
	v_mov_b32_e32 v6, 0
	s_waitcnt lgkmcnt(0)
	s_cmp_lt_u32 s6, s0
	s_cselect_b32 s2, 12, 18
	s_add_u32 s2, s1, s2
	s_addc_u32 s3, s3, 0
	global_load_ushort v8, v6, s[2:3]
	s_waitcnt vmcnt(0)
	v_mul_lo_u32 v5, s6, v8
	v_add_u32_e32 v5, v5, v0
	v_lshrrev_b32_e32 v7, 4, v5
	v_cmp_gt_i32_e32 vcc, s21, v7
	s_and_b64 exec, exec, vcc
	s_cbranch_execz .LBB6_25
; %bb.4:
	v_mul_lo_u32 v8, s0, v8
	s_load_dwordx4 s[24:27], s[4:5], 0x60
	s_load_dwordx2 s[0:1], s[4:5], 0x48
	v_and_b32_e32 v20, 7, v5
	s_load_dwordx8 s[8:15], s[4:5], 0x28
	v_lshrrev_b32_e32 v21, 4, v8
	v_lshl_or_b32 v8, s7, 3, v20
	v_ashrrev_i32_e32 v9, 31, v8
	s_waitcnt lgkmcnt(0)
	v_mul_lo_u32 v17, s0, v9
	v_mul_lo_u32 v18, s1, v8
	v_mad_u64_u32 v[12:13], s[0:1], s0, v8, 0
	v_lshlrev_b64 v[10:11], 3, v[8:9]
	v_lshrrev_b32_e32 v14, 3, v5
	v_mov_b32_e32 v16, s25
	v_add_co_u32_e32 v19, vcc, s24, v10
	v_add3_u32 v13, v13, v17, v18
	v_lshrrev_b32_e32 v10, 3, v0
	v_mov_b32_e32 v0, 0x600
	v_addc_co_u32_e32 v16, vcc, v16, v11, vcc
	v_lshl_or_b32 v0, v10, 5, v0
	v_mul_u32_u24_e32 v23, 0xc0, v10
	v_lshlrev_b64 v[10:11], 3, v[12:13]
	v_mad_u64_u32 v[12:13], s[2:3], s26, v14, 0
	v_mov_b32_e32 v25, s15
	v_add_co_u32_e64 v24, s[2:3], s14, v10
	v_mov_b32_e32 v10, v13
	v_addc_co_u32_e64 v25, s[2:3], v25, v11, s[2:3]
	v_mad_u64_u32 v[10:11], s[6:7], s27, v14, v[10:11]
	s_cmp_eq_u32 s20, 0
	v_cmp_neq_f32_e64 s[2:3], 0, v3
	v_cmp_neq_f32_e64 s[4:5], 0, v4
	v_mov_b32_e32 v13, v10
	s_cselect_b64 vcc, -1, 0
	s_or_b64 s[4:5], s[2:3], s[4:5]
	v_lshlrev_b64 v[10:11], 3, v[12:13]
	v_mul_lo_u32 v14, s26, v9
	v_mul_lo_u32 v26, s27, v8
	v_mad_u64_u32 v[12:13], s[2:3], s26, v8, 0
	v_add_co_u32_e64 v9, s[2:3], v19, v10
	v_add3_u32 v13, v13, v14, v26
	v_addc_co_u32_e64 v10, s[2:3], v16, v11, s[2:3]
	v_lshlrev_b64 v[11:12], 3, v[12:13]
	v_cmp_gt_i32_e64 s[0:1], s22, v8
	v_mov_b32_e32 v8, s25
	v_add_co_u32_e64 v11, s[2:3], s24, v11
	v_bfe_u32 v15, v5, 3, 1
	v_addc_co_u32_e64 v8, s[2:3], v8, v12, s[2:3]
	v_and_b32_e32 v5, -8, v5
	v_lshlrev_b32_e32 v18, 1, v15
	v_add_co_u32_e64 v11, s[2:3], v11, v5
	v_or_b32_e32 v17, 2, v15
	v_mul_u32_u24_e32 v29, 24, v20
	v_or_b32_e32 v27, 1, v18
	s_cmp_lg_u32 s16, 1
	v_addc_co_u32_e64 v12, s[2:3], 0, v8, s[2:3]
	v_lshl_or_b32 v22, v20, 2, v0
	s_cselect_b64 s[6:7], -1, 0
	v_cndmask_b32_e32 v26, v15, v18, vcc
	v_cndmask_b32_e32 v27, v17, v27, vcc
	v_subrev_u32_e32 v28, s17, v20
	s_mov_b64 s[2:3], 0
	v_add_u32_e32 v29, v23, v29
	s_branch .LBB6_6
.LBB6_5:                                ;   in Loop: Header=BB6_6 Depth=1
	s_or_b64 exec, exec, s[14:15]
	v_add_u32_e32 v7, v7, v21
	v_cmp_le_i32_e32 vcc, s21, v7
	s_or_b64 s[2:3], vcc, s[2:3]
	s_andn2_b64 exec, exec, s[2:3]
	s_cbranch_execz .LBB6_25
.LBB6_6:                                ; =>This Loop Header: Depth=1
                                        ;     Child Loop BB6_9 Depth 2
	v_mov_b32_e32 v8, v6
	v_lshlrev_b64 v[13:14], 2, v[7:8]
	v_mov_b32_e32 v5, s9
	v_add_co_u32_e32 v13, vcc, s8, v13
	v_addc_co_u32_e32 v14, vcc, v5, v14, vcc
	global_load_dwordx2 v[13:14], v[13:14], off
	v_mov_b32_e32 v8, 0
	v_mov_b32_e32 v32, 0
	s_waitcnt vmcnt(0)
	v_cmp_lt_i32_e32 vcc, v13, v14
	s_and_saveexec_b64 s[14:15], vcc
	s_cbranch_execz .LBB6_14
; %bb.7:                                ;   in Loop: Header=BB6_6 Depth=1
	v_add_lshl_u32 v5, v28, v13, 2
	v_subrev_u32_e32 v30, s17, v14
	v_subrev_u32_e32 v31, s17, v13
	v_or_b32_e32 v13, v27, v5
	v_or_b32_e32 v5, v26, v5
	v_mov_b32_e32 v8, 0
	s_mov_b64 s[18:19], 0
	v_mov_b32_e32 v32, 0
	s_branch .LBB6_9
.LBB6_8:                                ;   in Loop: Header=BB6_9 Depth=2
	s_or_b64 exec, exec, s[22:23]
	v_add_u32_e32 v31, 8, v31
	v_cmp_ge_i32_e32 vcc, v31, v30
	v_add_u32_e32 v13, 32, v13
	s_or_b64 s[18:19], vcc, s[18:19]
	v_add_u32_e32 v5, 32, v5
	s_andn2_b64 exec, exec, s[18:19]
	s_cbranch_execz .LBB6_13
.LBB6_9:                                ;   Parent Loop BB6_6 Depth=1
                                        ; =>  This Inner Loop Header: Depth=2
	v_add_u32_e32 v18, v20, v31
	v_cmp_lt_i32_e32 vcc, v18, v30
	v_mov_b32_e32 v19, 0
	v_mov_b32_e32 v14, 0
	;; [unrolled: 1-line block ×5, first 2 shown]
	s_and_saveexec_b64 s[22:23], vcc
	s_cbranch_execz .LBB6_11
; %bb.10:                               ;   in Loop: Header=BB6_9 Depth=2
	v_ashrrev_i32_e32 v19, 31, v18
	v_lshlrev_b64 v[14:15], 2, v[18:19]
	v_mov_b32_e32 v16, s11
	v_add_co_u32_e32 v14, vcc, s10, v14
	v_addc_co_u32_e32 v15, vcc, v16, v15, vcc
	global_load_dword v35, v[14:15], off
	v_lshlrev_b64 v[14:15], 3, v[5:6]
	v_mov_b32_e32 v16, s13
	v_add_co_u32_e32 v18, vcc, s12, v14
	v_mov_b32_e32 v14, v6
	v_addc_co_u32_e32 v19, vcc, v16, v15, vcc
	v_lshlrev_b64 v[14:15], 3, v[13:14]
	v_add_co_u32_e32 v33, vcc, s12, v14
	v_addc_co_u32_e32 v34, vcc, v16, v15, vcc
	global_load_dwordx2 v[14:15], v[18:19], off
	global_load_dwordx2 v[16:17], v[33:34], off
	s_waitcnt vmcnt(2)
	v_subrev_u32_e32 v18, s17, v35
	v_lshlrev_b32_e32 v19, 1, v18
.LBB6_11:                               ;   in Loop: Header=BB6_9 Depth=2
	s_or_b64 exec, exec, s[22:23]
	ds_write_b32 v22, v19
	s_waitcnt vmcnt(0)
	ds_write2_b64 v29, v[14:15], v[16:17] offset1:1
	s_waitcnt lgkmcnt(0)
	; wave barrier
	s_and_saveexec_b64 s[22:23], s[0:1]
	s_cbranch_execz .LBB6_8
; %bb.12:                               ;   in Loop: Header=BB6_9 Depth=2
	ds_read_b128 v[14:17], v23
	ds_read_b128 v[33:36], v23 offset:48
	ds_read_b128 v[37:40], v0
	ds_read_b128 v[41:44], v0 offset:16
	s_waitcnt lgkmcnt(1)
	v_ashrrev_i32_e32 v19, 31, v37
	v_mov_b32_e32 v18, v37
	v_lshlrev_b64 v[18:19], 3, v[18:19]
	v_add_co_u32_e32 v18, vcc, v24, v18
	v_addc_co_u32_e32 v19, vcc, v25, v19, vcc
	global_load_dwordx4 v[45:48], v[18:19], off
	v_ashrrev_i32_e32 v19, 31, v38
	s_waitcnt vmcnt(0)
	v_fmac_f32_e32 v32, v14, v45
	v_fma_f32 v18, -v15, v46, v32
	v_fmac_f32_e32 v18, v16, v47
	v_fma_f32 v32, -v17, v48, v18
	v_mov_b32_e32 v18, v38
	v_lshlrev_b64 v[18:19], 3, v[18:19]
	v_fmac_f32_e32 v8, v15, v45
	v_fmac_f32_e32 v8, v14, v46
	v_add_co_u32_e32 v18, vcc, v24, v18
	v_fmac_f32_e32 v8, v17, v47
	v_addc_co_u32_e32 v19, vcc, v25, v19, vcc
	v_fmac_f32_e32 v8, v16, v48
	global_load_dwordx4 v[45:48], v[18:19], off
	ds_read2_b64 v[14:17], v23 offset0:3 offset1:4
	v_ashrrev_i32_e32 v19, 31, v40
	s_waitcnt vmcnt(0) lgkmcnt(0)
	v_fmac_f32_e32 v32, v14, v45
	v_fmac_f32_e32 v8, v15, v45
	v_fma_f32 v18, -v15, v46, v32
	v_fmac_f32_e32 v8, v14, v46
	v_ashrrev_i32_e32 v15, 31, v39
	v_mov_b32_e32 v14, v39
	v_lshlrev_b64 v[14:15], 3, v[14:15]
	v_fmac_f32_e32 v18, v16, v47
	v_add_co_u32_e32 v14, vcc, v24, v14
	v_fmac_f32_e32 v8, v17, v47
	v_addc_co_u32_e32 v15, vcc, v25, v15, vcc
	v_fma_f32 v18, -v17, v48, v18
	v_fmac_f32_e32 v8, v16, v48
	global_load_dwordx4 v[14:17], v[14:15], off
	s_waitcnt vmcnt(0)
	v_fmac_f32_e32 v18, v33, v14
	v_fma_f32 v18, -v34, v15, v18
	v_fmac_f32_e32 v18, v35, v16
	v_fma_f32 v37, -v36, v17, v18
	v_mov_b32_e32 v18, v40
	v_lshlrev_b64 v[18:19], 3, v[18:19]
	v_fmac_f32_e32 v8, v34, v14
	v_fmac_f32_e32 v8, v33, v15
	v_add_co_u32_e32 v18, vcc, v24, v18
	v_fmac_f32_e32 v8, v36, v16
	v_addc_co_u32_e32 v19, vcc, v25, v19, vcc
	v_fmac_f32_e32 v8, v35, v17
	global_load_dwordx4 v[32:35], v[18:19], off
	ds_read2_b64 v[14:17], v23 offset0:9 offset1:10
	v_ashrrev_i32_e32 v19, 31, v41
	s_waitcnt vmcnt(0) lgkmcnt(0)
	v_fmac_f32_e32 v37, v14, v32
	v_fma_f32 v18, -v15, v33, v37
	v_fmac_f32_e32 v18, v16, v34
	v_fma_f32 v36, -v17, v35, v18
	v_mov_b32_e32 v18, v41
	v_lshlrev_b64 v[18:19], 3, v[18:19]
	v_fmac_f32_e32 v8, v15, v32
	v_fmac_f32_e32 v8, v14, v33
	v_add_co_u32_e32 v18, vcc, v24, v18
	v_fmac_f32_e32 v8, v17, v34
	v_addc_co_u32_e32 v19, vcc, v25, v19, vcc
	v_fmac_f32_e32 v8, v16, v35
	global_load_dwordx4 v[32:35], v[18:19], off
	ds_read_b128 v[14:17], v23 offset:96
	v_ashrrev_i32_e32 v19, 31, v42
	s_waitcnt vmcnt(0) lgkmcnt(0)
	v_fmac_f32_e32 v36, v14, v32
	v_fma_f32 v18, -v15, v33, v36
	v_fmac_f32_e32 v18, v16, v34
	v_fma_f32 v36, -v17, v35, v18
	v_mov_b32_e32 v18, v42
	v_lshlrev_b64 v[18:19], 3, v[18:19]
	v_fmac_f32_e32 v8, v15, v32
	v_fmac_f32_e32 v8, v14, v33
	v_add_co_u32_e32 v18, vcc, v24, v18
	v_fmac_f32_e32 v8, v17, v34
	v_addc_co_u32_e32 v19, vcc, v25, v19, vcc
	v_fmac_f32_e32 v8, v16, v35
	global_load_dwordx4 v[32:35], v[18:19], off
	ds_read2_b64 v[14:17], v23 offset0:15 offset1:16
	v_ashrrev_i32_e32 v19, 31, v43
	s_waitcnt vmcnt(0) lgkmcnt(0)
	v_fmac_f32_e32 v36, v14, v32
	v_fma_f32 v18, -v15, v33, v36
	v_fmac_f32_e32 v18, v16, v34
	v_fma_f32 v36, -v17, v35, v18
	v_mov_b32_e32 v18, v43
	v_lshlrev_b64 v[18:19], 3, v[18:19]
	v_fmac_f32_e32 v8, v15, v32
	v_fmac_f32_e32 v8, v14, v33
	v_add_co_u32_e32 v18, vcc, v24, v18
	v_fmac_f32_e32 v8, v17, v34
	v_addc_co_u32_e32 v19, vcc, v25, v19, vcc
	v_fmac_f32_e32 v8, v16, v35
	global_load_dwordx4 v[32:35], v[18:19], off
	ds_read_b128 v[14:17], v23 offset:144
	v_ashrrev_i32_e32 v19, 31, v44
	s_waitcnt vmcnt(0) lgkmcnt(0)
	v_fmac_f32_e32 v36, v14, v32
	v_fma_f32 v18, -v15, v33, v36
	v_fmac_f32_e32 v18, v16, v34
	v_fma_f32 v36, -v17, v35, v18
	v_mov_b32_e32 v18, v44
	v_lshlrev_b64 v[18:19], 3, v[18:19]
	v_fmac_f32_e32 v8, v15, v32
	v_fmac_f32_e32 v8, v14, v33
	v_add_co_u32_e32 v18, vcc, v24, v18
	v_fmac_f32_e32 v8, v17, v34
	v_addc_co_u32_e32 v19, vcc, v25, v19, vcc
	v_fmac_f32_e32 v8, v16, v35
	global_load_dwordx4 v[32:35], v[18:19], off
	ds_read2_b64 v[14:17], v23 offset0:21 offset1:22
	s_waitcnt vmcnt(0) lgkmcnt(0)
	v_fmac_f32_e32 v36, v14, v32
	v_fmac_f32_e32 v8, v15, v32
	v_fma_f32 v18, -v15, v33, v36
	v_fmac_f32_e32 v8, v14, v33
	v_fmac_f32_e32 v18, v16, v34
	;; [unrolled: 1-line block ×3, first 2 shown]
	v_fma_f32 v32, -v17, v35, v18
	v_fmac_f32_e32 v8, v16, v35
	s_branch .LBB6_8
.LBB6_13:                               ;   in Loop: Header=BB6_6 Depth=1
	s_or_b64 exec, exec, s[18:19]
.LBB6_14:                               ;   in Loop: Header=BB6_6 Depth=1
	s_or_b64 exec, exec, s[14:15]
	s_and_saveexec_b64 s[14:15], s[0:1]
	s_cbranch_execz .LBB6_5
; %bb.15:                               ;   in Loop: Header=BB6_6 Depth=1
	v_mul_f32_e64 v13, v8, -v2
	v_mul_f32_e32 v14, v1, v8
	v_fmac_f32_e32 v13, v1, v32
	v_fmac_f32_e32 v14, v2, v32
	s_and_saveexec_b64 s[18:19], s[4:5]
	s_xor_b64 s[18:19], exec, s[18:19]
	s_cbranch_execz .LBB6_20
; %bb.16:                               ;   in Loop: Header=BB6_6 Depth=1
	s_mov_b64 s[22:23], -1
	s_and_b64 vcc, exec, s[6:7]
	s_cbranch_vccz .LBB6_18
; %bb.17:                               ;   in Loop: Header=BB6_6 Depth=1
	global_load_dwordx2 v[15:16], v[9:10], off
	s_mov_b64 s[22:23], 0
	s_waitcnt vmcnt(0)
	v_fma_f32 v5, v3, v15, v13
	v_fma_f32 v18, v4, v15, v14
	v_fma_f32 v17, -v4, v16, v5
	v_fmac_f32_e32 v18, v3, v16
	global_store_dwordx2 v[9:10], v[17:18], off
.LBB6_18:                               ;   in Loop: Header=BB6_6 Depth=1
	s_andn2_b64 vcc, exec, s[22:23]
	s_cbranch_vccnz .LBB6_20
; %bb.19:                               ;   in Loop: Header=BB6_6 Depth=1
	global_load_dwordx2 v[15:16], v[11:12], off
	s_waitcnt vmcnt(0)
	v_fmac_f32_e32 v13, v3, v15
	v_fmac_f32_e32 v14, v4, v15
	v_fma_f32 v13, -v4, v16, v13
	v_fmac_f32_e32 v14, v3, v16
	global_store_dwordx2 v[11:12], v[13:14], off
                                        ; implicit-def: $vgpr13
.LBB6_20:                               ;   in Loop: Header=BB6_6 Depth=1
	s_andn2_saveexec_b64 s[18:19], s[18:19]
	s_cbranch_execz .LBB6_5
; %bb.21:                               ;   in Loop: Header=BB6_6 Depth=1
	s_mov_b64 s[18:19], -1
	s_and_b64 vcc, exec, s[6:7]
	s_cbranch_vccz .LBB6_23
; %bb.22:                               ;   in Loop: Header=BB6_6 Depth=1
	global_store_dwordx2 v[9:10], v[13:14], off
	s_mov_b64 s[18:19], 0
.LBB6_23:                               ;   in Loop: Header=BB6_6 Depth=1
	s_andn2_b64 vcc, exec, s[18:19]
	s_cbranch_vccnz .LBB6_5
; %bb.24:                               ;   in Loop: Header=BB6_6 Depth=1
	global_store_dwordx2 v[11:12], v[13:14], off
	s_branch .LBB6_5
.LBB6_25:
	s_endpgm
	.section	.rodata,"a",@progbits
	.p2align	6, 0x0
	.amdhsa_kernel _ZN9rocsparseL29bsrmmnn_small_blockdim_kernelILj64ELj8ELj2Eii21rocsparse_complex_numIfES2_S2_S2_EEv20rocsparse_direction_T3_S4_llNS_24const_host_device_scalarIT7_EEPKT2_PKS4_PKT4_PKT5_llS7_PT6_ll16rocsparse_order_21rocsparse_index_base_b
		.amdhsa_group_segment_fixed_size 1792
		.amdhsa_private_segment_fixed_size 0
		.amdhsa_kernarg_size 392
		.amdhsa_user_sgpr_count 6
		.amdhsa_user_sgpr_private_segment_buffer 1
		.amdhsa_user_sgpr_dispatch_ptr 0
		.amdhsa_user_sgpr_queue_ptr 0
		.amdhsa_user_sgpr_kernarg_segment_ptr 1
		.amdhsa_user_sgpr_dispatch_id 0
		.amdhsa_user_sgpr_flat_scratch_init 0
		.amdhsa_user_sgpr_private_segment_size 0
		.amdhsa_uses_dynamic_stack 0
		.amdhsa_system_sgpr_private_segment_wavefront_offset 0
		.amdhsa_system_sgpr_workgroup_id_x 1
		.amdhsa_system_sgpr_workgroup_id_y 1
		.amdhsa_system_sgpr_workgroup_id_z 0
		.amdhsa_system_sgpr_workgroup_info 0
		.amdhsa_system_vgpr_workitem_id 0
		.amdhsa_next_free_vgpr 49
		.amdhsa_next_free_sgpr 61
		.amdhsa_reserve_vcc 1
		.amdhsa_reserve_flat_scratch 0
		.amdhsa_float_round_mode_32 0
		.amdhsa_float_round_mode_16_64 0
		.amdhsa_float_denorm_mode_32 3
		.amdhsa_float_denorm_mode_16_64 3
		.amdhsa_dx10_clamp 1
		.amdhsa_ieee_mode 1
		.amdhsa_fp16_overflow 0
		.amdhsa_exception_fp_ieee_invalid_op 0
		.amdhsa_exception_fp_denorm_src 0
		.amdhsa_exception_fp_ieee_div_zero 0
		.amdhsa_exception_fp_ieee_overflow 0
		.amdhsa_exception_fp_ieee_underflow 0
		.amdhsa_exception_fp_ieee_inexact 0
		.amdhsa_exception_int_div_zero 0
	.end_amdhsa_kernel
	.section	.text._ZN9rocsparseL29bsrmmnn_small_blockdim_kernelILj64ELj8ELj2Eii21rocsparse_complex_numIfES2_S2_S2_EEv20rocsparse_direction_T3_S4_llNS_24const_host_device_scalarIT7_EEPKT2_PKS4_PKT4_PKT5_llS7_PT6_ll16rocsparse_order_21rocsparse_index_base_b,"axG",@progbits,_ZN9rocsparseL29bsrmmnn_small_blockdim_kernelILj64ELj8ELj2Eii21rocsparse_complex_numIfES2_S2_S2_EEv20rocsparse_direction_T3_S4_llNS_24const_host_device_scalarIT7_EEPKT2_PKS4_PKT4_PKT5_llS7_PT6_ll16rocsparse_order_21rocsparse_index_base_b,comdat
.Lfunc_end6:
	.size	_ZN9rocsparseL29bsrmmnn_small_blockdim_kernelILj64ELj8ELj2Eii21rocsparse_complex_numIfES2_S2_S2_EEv20rocsparse_direction_T3_S4_llNS_24const_host_device_scalarIT7_EEPKT2_PKS4_PKT4_PKT5_llS7_PT6_ll16rocsparse_order_21rocsparse_index_base_b, .Lfunc_end6-_ZN9rocsparseL29bsrmmnn_small_blockdim_kernelILj64ELj8ELj2Eii21rocsparse_complex_numIfES2_S2_S2_EEv20rocsparse_direction_T3_S4_llNS_24const_host_device_scalarIT7_EEPKT2_PKS4_PKT4_PKT5_llS7_PT6_ll16rocsparse_order_21rocsparse_index_base_b
                                        ; -- End function
	.set _ZN9rocsparseL29bsrmmnn_small_blockdim_kernelILj64ELj8ELj2Eii21rocsparse_complex_numIfES2_S2_S2_EEv20rocsparse_direction_T3_S4_llNS_24const_host_device_scalarIT7_EEPKT2_PKS4_PKT4_PKT5_llS7_PT6_ll16rocsparse_order_21rocsparse_index_base_b.num_vgpr, 49
	.set _ZN9rocsparseL29bsrmmnn_small_blockdim_kernelILj64ELj8ELj2Eii21rocsparse_complex_numIfES2_S2_S2_EEv20rocsparse_direction_T3_S4_llNS_24const_host_device_scalarIT7_EEPKT2_PKS4_PKT4_PKT5_llS7_PT6_ll16rocsparse_order_21rocsparse_index_base_b.num_agpr, 0
	.set _ZN9rocsparseL29bsrmmnn_small_blockdim_kernelILj64ELj8ELj2Eii21rocsparse_complex_numIfES2_S2_S2_EEv20rocsparse_direction_T3_S4_llNS_24const_host_device_scalarIT7_EEPKT2_PKS4_PKT4_PKT5_llS7_PT6_ll16rocsparse_order_21rocsparse_index_base_b.numbered_sgpr, 28
	.set _ZN9rocsparseL29bsrmmnn_small_blockdim_kernelILj64ELj8ELj2Eii21rocsparse_complex_numIfES2_S2_S2_EEv20rocsparse_direction_T3_S4_llNS_24const_host_device_scalarIT7_EEPKT2_PKS4_PKT4_PKT5_llS7_PT6_ll16rocsparse_order_21rocsparse_index_base_b.num_named_barrier, 0
	.set _ZN9rocsparseL29bsrmmnn_small_blockdim_kernelILj64ELj8ELj2Eii21rocsparse_complex_numIfES2_S2_S2_EEv20rocsparse_direction_T3_S4_llNS_24const_host_device_scalarIT7_EEPKT2_PKS4_PKT4_PKT5_llS7_PT6_ll16rocsparse_order_21rocsparse_index_base_b.private_seg_size, 0
	.set _ZN9rocsparseL29bsrmmnn_small_blockdim_kernelILj64ELj8ELj2Eii21rocsparse_complex_numIfES2_S2_S2_EEv20rocsparse_direction_T3_S4_llNS_24const_host_device_scalarIT7_EEPKT2_PKS4_PKT4_PKT5_llS7_PT6_ll16rocsparse_order_21rocsparse_index_base_b.uses_vcc, 1
	.set _ZN9rocsparseL29bsrmmnn_small_blockdim_kernelILj64ELj8ELj2Eii21rocsparse_complex_numIfES2_S2_S2_EEv20rocsparse_direction_T3_S4_llNS_24const_host_device_scalarIT7_EEPKT2_PKS4_PKT4_PKT5_llS7_PT6_ll16rocsparse_order_21rocsparse_index_base_b.uses_flat_scratch, 0
	.set _ZN9rocsparseL29bsrmmnn_small_blockdim_kernelILj64ELj8ELj2Eii21rocsparse_complex_numIfES2_S2_S2_EEv20rocsparse_direction_T3_S4_llNS_24const_host_device_scalarIT7_EEPKT2_PKS4_PKT4_PKT5_llS7_PT6_ll16rocsparse_order_21rocsparse_index_base_b.has_dyn_sized_stack, 0
	.set _ZN9rocsparseL29bsrmmnn_small_blockdim_kernelILj64ELj8ELj2Eii21rocsparse_complex_numIfES2_S2_S2_EEv20rocsparse_direction_T3_S4_llNS_24const_host_device_scalarIT7_EEPKT2_PKS4_PKT4_PKT5_llS7_PT6_ll16rocsparse_order_21rocsparse_index_base_b.has_recursion, 0
	.set _ZN9rocsparseL29bsrmmnn_small_blockdim_kernelILj64ELj8ELj2Eii21rocsparse_complex_numIfES2_S2_S2_EEv20rocsparse_direction_T3_S4_llNS_24const_host_device_scalarIT7_EEPKT2_PKS4_PKT4_PKT5_llS7_PT6_ll16rocsparse_order_21rocsparse_index_base_b.has_indirect_call, 0
	.section	.AMDGPU.csdata,"",@progbits
; Kernel info:
; codeLenInByte = 1884
; TotalNumSgprs: 32
; NumVgprs: 49
; ScratchSize: 0
; MemoryBound: 0
; FloatMode: 240
; IeeeMode: 1
; LDSByteSize: 1792 bytes/workgroup (compile time only)
; SGPRBlocks: 8
; VGPRBlocks: 12
; NumSGPRsForWavesPerEU: 65
; NumVGPRsForWavesPerEU: 49
; Occupancy: 4
; WaveLimiterHint : 0
; COMPUTE_PGM_RSRC2:SCRATCH_EN: 0
; COMPUTE_PGM_RSRC2:USER_SGPR: 6
; COMPUTE_PGM_RSRC2:TRAP_HANDLER: 0
; COMPUTE_PGM_RSRC2:TGID_X_EN: 1
; COMPUTE_PGM_RSRC2:TGID_Y_EN: 1
; COMPUTE_PGM_RSRC2:TGID_Z_EN: 0
; COMPUTE_PGM_RSRC2:TIDIG_COMP_CNT: 0
	.section	.text._ZN9rocsparseL29bsrmmnn_small_blockdim_kernelILj64ELj8ELj2Eli21rocsparse_complex_numIfES2_S2_S2_EEv20rocsparse_direction_T3_S4_llNS_24const_host_device_scalarIT7_EEPKT2_PKS4_PKT4_PKT5_llS7_PT6_ll16rocsparse_order_21rocsparse_index_base_b,"axG",@progbits,_ZN9rocsparseL29bsrmmnn_small_blockdim_kernelILj64ELj8ELj2Eli21rocsparse_complex_numIfES2_S2_S2_EEv20rocsparse_direction_T3_S4_llNS_24const_host_device_scalarIT7_EEPKT2_PKS4_PKT4_PKT5_llS7_PT6_ll16rocsparse_order_21rocsparse_index_base_b,comdat
	.globl	_ZN9rocsparseL29bsrmmnn_small_blockdim_kernelILj64ELj8ELj2Eli21rocsparse_complex_numIfES2_S2_S2_EEv20rocsparse_direction_T3_S4_llNS_24const_host_device_scalarIT7_EEPKT2_PKS4_PKT4_PKT5_llS7_PT6_ll16rocsparse_order_21rocsparse_index_base_b ; -- Begin function _ZN9rocsparseL29bsrmmnn_small_blockdim_kernelILj64ELj8ELj2Eli21rocsparse_complex_numIfES2_S2_S2_EEv20rocsparse_direction_T3_S4_llNS_24const_host_device_scalarIT7_EEPKT2_PKS4_PKT4_PKT5_llS7_PT6_ll16rocsparse_order_21rocsparse_index_base_b
	.p2align	8
	.type	_ZN9rocsparseL29bsrmmnn_small_blockdim_kernelILj64ELj8ELj2Eli21rocsparse_complex_numIfES2_S2_S2_EEv20rocsparse_direction_T3_S4_llNS_24const_host_device_scalarIT7_EEPKT2_PKS4_PKT4_PKT5_llS7_PT6_ll16rocsparse_order_21rocsparse_index_base_b,@function
_ZN9rocsparseL29bsrmmnn_small_blockdim_kernelILj64ELj8ELj2Eli21rocsparse_complex_numIfES2_S2_S2_EEv20rocsparse_direction_T3_S4_llNS_24const_host_device_scalarIT7_EEPKT2_PKS4_PKT4_PKT5_llS7_PT6_ll16rocsparse_order_21rocsparse_index_base_b: ; @_ZN9rocsparseL29bsrmmnn_small_blockdim_kernelILj64ELj8ELj2Eli21rocsparse_complex_numIfES2_S2_S2_EEv20rocsparse_direction_T3_S4_llNS_24const_host_device_scalarIT7_EEPKT2_PKS4_PKT4_PKT5_llS7_PT6_ll16rocsparse_order_21rocsparse_index_base_b
; %bb.0:
	s_load_dwordx2 s[0:1], s[4:5], 0x20
	s_load_dwordx2 s[2:3], s[4:5], 0x58
	s_load_dwordx4 s[16:19], s[4:5], 0x78
	s_add_u32 s8, s4, 32
	s_addc_u32 s9, s5, 0
	s_add_u32 s10, s4, 0x58
	s_addc_u32 s11, s5, 0
	s_waitcnt lgkmcnt(0)
	s_bitcmp1_b32 s18, 0
	s_cselect_b32 s1, s9, s1
	s_cselect_b32 s0, s8, s0
	v_mov_b32_e32 v1, s0
	v_mov_b32_e32 v2, s1
	flat_load_dwordx2 v[4:5], v[1:2]
	s_cselect_b32 s0, s11, s3
	s_cselect_b32 s1, s10, s2
	v_mov_b32_e32 v1, s1
	v_mov_b32_e32 v2, s0
	flat_load_dwordx2 v[6:7], v[1:2]
	s_waitcnt vmcnt(0) lgkmcnt(0)
	v_cmp_eq_f32_e32 vcc, 0, v4
	v_cmp_eq_f32_e64 s[0:1], 0, v5
	s_and_b64 s[8:9], vcc, s[0:1]
	s_mov_b64 s[0:1], -1
	s_and_saveexec_b64 s[2:3], s[8:9]
; %bb.1:
	v_cmp_neq_f32_e32 vcc, 1.0, v6
	v_cmp_neq_f32_e64 s[0:1], 0, v7
	s_or_b64 s[0:1], vcc, s[0:1]
	s_orn2_b64 s[0:1], s[0:1], exec
; %bb.2:
	s_or_b64 exec, exec, s[2:3]
	s_and_saveexec_b64 s[2:3], s[0:1]
	s_cbranch_execz .LBB7_25
; %bb.3:
	s_load_dword s0, s[4:5], 0x88
	s_load_dwordx4 s[20:23], s[4:5], 0x0
	s_add_u32 s1, s4, 0x88
	s_addc_u32 s3, s5, 0
	v_mov_b32_e32 v9, 0
	s_waitcnt lgkmcnt(0)
	s_cmp_lt_u32 s6, s0
	s_cselect_b32 s2, 12, 18
	s_add_u32 s2, s1, s2
	s_addc_u32 s3, s3, 0
	global_load_ushort v2, v9, s[2:3]
	s_waitcnt vmcnt(0)
	v_mul_lo_u32 v1, s6, v2
	v_add_u32_e32 v1, v1, v0
	v_lshrrev_b32_e32 v8, 4, v1
	v_cmp_gt_i32_e32 vcc, s21, v8
	s_and_b64 exec, exec, vcc
	s_cbranch_execz .LBB7_25
; %bb.4:
	v_mul_lo_u32 v2, s0, v2
	v_and_b32_e32 v23, 7, v1
	s_load_dwordx8 s[8:15], s[4:5], 0x28
	s_load_dwordx4 s[24:27], s[4:5], 0x60
	s_load_dwordx2 s[0:1], s[4:5], 0x48
	v_lshrrev_b32_e32 v0, 3, v0
	v_lshrrev_b32_e32 v22, 4, v2
	v_lshl_or_b32 v2, s7, 3, v23
	v_ashrrev_i32_e32 v3, 31, v2
	v_lshlrev_b64 v[10:11], 3, v[2:3]
	s_waitcnt lgkmcnt(0)
	v_mov_b32_e32 v14, s25
	v_add_co_u32_e32 v17, vcc, s24, v10
	v_mul_lo_u32 v15, s0, v3
	v_mul_lo_u32 v16, s1, v2
	v_mad_u64_u32 v[12:13], s[0:1], s0, v2, 0
	v_addc_co_u32_e32 v18, vcc, v14, v11, vcc
	v_lshrrev_b32_e32 v14, 3, v1
	v_mov_b32_e32 v10, 0x600
	v_cmp_neq_f32_e32 vcc, 0, v6
	v_cmp_neq_f32_e64 s[0:1], 0, v7
	v_lshl_or_b32 v24, v0, 5, v10
	s_or_b64 s[4:5], vcc, s[0:1]
	v_mad_u64_u32 v[10:11], s[0:1], s26, v14, 0
	v_add3_u32 v13, v13, v15, v16
	v_mul_u32_u24_e32 v26, 0xc0, v0
	v_mov_b32_e32 v0, v11
	v_lshlrev_b64 v[12:13], 3, v[12:13]
	v_mad_u64_u32 v[14:15], s[2:3], s27, v14, v[0:1]
	v_cmp_gt_i32_e64 s[0:1], s22, v2
	v_add_co_u32_e32 v27, vcc, s14, v12
	v_mul_lo_u32 v0, s26, v3
	v_mul_lo_u32 v12, s27, v2
	v_mad_u64_u32 v[2:3], s[2:3], s26, v2, 0
	v_mov_b32_e32 v11, v14
	v_mov_b32_e32 v20, s15
	v_lshlrev_b64 v[10:11], 3, v[10:11]
	v_addc_co_u32_e32 v28, vcc, v20, v13, vcc
	v_add3_u32 v3, v3, v0, v12
	v_add_co_u32_e32 v10, vcc, v17, v10
	v_lshlrev_b64 v[2:3], 3, v[2:3]
	v_addc_co_u32_e32 v11, vcc, v18, v11, vcc
	s_cmp_lg_u32 s16, 1
	v_mov_b32_e32 v0, s25
	v_add_co_u32_e32 v2, vcc, s24, v2
	v_bfe_u32 v19, v1, 3, 1
	s_cselect_b64 s[6:7], -1, 0
	s_cmp_eq_u32 s20, 0
	v_addc_co_u32_e32 v0, vcc, v0, v3, vcc
	v_and_b32_e32 v1, -8, v1
	v_add_co_u32_e32 v12, vcc, v2, v1
	s_cselect_b64 s[2:3], -1, 0
	v_addc_co_u32_e32 v13, vcc, 0, v0, vcc
	v_cndmask_b32_e64 v0, 0, 1, s[2:3]
	v_lshlrev_b32_e32 v0, v0, v19
	v_subrev_co_u32_e32 v29, vcc, s17, v23
	v_lshlrev_b32_e32 v0, 3, v0
	v_mul_u32_u24_e32 v16, 24, v23
	s_and_b64 s[2:3], s[2:3], exec
	v_subb_co_u32_e64 v30, s[2:3], 0, 0, vcc
	v_mov_b32_e32 v1, s13
	v_add_co_u32_e32 v31, vcc, s12, v0
	s_mov_b32 s23, s17
	v_lshl_or_b32 v25, v23, 2, v24
	s_cselect_b32 s16, 8, 16
	s_cselect_b32 s20, 12, 20
	v_addc_co_u32_e32 v32, vcc, 0, v1, vcc
	s_mov_b64 s[12:13], 0
	v_add_u32_e32 v33, v26, v16
	s_branch .LBB7_6
.LBB7_5:                                ;   in Loop: Header=BB7_6 Depth=1
	s_or_b64 exec, exec, s[2:3]
	v_add_u32_e32 v8, v8, v22
	v_cmp_le_i32_e32 vcc, s21, v8
	s_or_b64 s[12:13], vcc, s[12:13]
	s_andn2_b64 exec, exec, s[12:13]
	s_cbranch_execz .LBB7_25
.LBB7_6:                                ; =>This Loop Header: Depth=1
                                        ;     Child Loop BB7_9 Depth 2
	v_lshlrev_b64 v[0:1], 3, v[8:9]
	v_mov_b32_e32 v2, s9
	v_add_co_u32_e32 v0, vcc, s8, v0
	v_addc_co_u32_e32 v1, vcc, v2, v1, vcc
	global_load_dwordx4 v[0:3], v[0:1], off
	v_mov_b32_e32 v34, 0
	v_mov_b32_e32 v35, 0
	s_waitcnt vmcnt(0)
	v_cmp_lt_i64_e32 vcc, v[0:1], v[2:3]
	s_and_saveexec_b64 s[14:15], vcc
	s_cbranch_execz .LBB7_14
; %bb.7:                                ;   in Loop: Header=BB7_6 Depth=1
	v_subrev_co_u32_e32 v2, vcc, s23, v2
	v_subbrev_co_u32_e32 v3, vcc, 0, v3, vcc
	v_subrev_co_u32_e32 v14, vcc, s23, v0
	v_subbrev_co_u32_e32 v15, vcc, 0, v1, vcc
	v_add_co_u32_e32 v16, vcc, v29, v0
	v_addc_co_u32_e32 v17, vcc, v30, v1, vcc
	v_lshlrev_b64 v[0:1], 2, v[16:17]
	v_mov_b32_e32 v18, s11
	v_add_co_u32_e32 v0, vcc, s10, v0
	v_lshlrev_b64 v[16:17], 5, v[16:17]
	v_addc_co_u32_e32 v1, vcc, v18, v1, vcc
	v_add_co_u32_e32 v16, vcc, v31, v16
	v_addc_co_u32_e32 v17, vcc, v32, v17, vcc
	v_mov_b32_e32 v34, 0
	s_mov_b64 s[18:19], 0
	v_mov_b32_e32 v35, 0
	s_branch .LBB7_9
.LBB7_8:                                ;   in Loop: Header=BB7_9 Depth=2
	s_or_b64 exec, exec, s[2:3]
	v_add_co_u32_e32 v14, vcc, 8, v14
	v_addc_co_u32_e32 v15, vcc, 0, v15, vcc
	v_add_co_u32_e32 v0, vcc, 32, v0
	v_addc_co_u32_e32 v1, vcc, 0, v1, vcc
	v_cmp_ge_i64_e64 s[2:3], v[14:15], v[2:3]
	v_add_co_u32_e32 v16, vcc, 0x100, v16
	s_or_b64 s[18:19], s[2:3], s[18:19]
	v_addc_co_u32_e32 v17, vcc, 0, v17, vcc
	s_andn2_b64 exec, exec, s[18:19]
	s_cbranch_execz .LBB7_13
.LBB7_9:                                ;   Parent Loop BB7_6 Depth=1
                                        ; =>  This Inner Loop Header: Depth=2
	v_add_co_u32_e32 v18, vcc, v23, v14
	v_addc_co_u32_e32 v19, vcc, 0, v15, vcc
	v_cmp_lt_i64_e32 vcc, v[18:19], v[2:3]
	v_mov_b32_e32 v36, 0
	v_mov_b32_e32 v18, 0
	;; [unrolled: 1-line block ×5, first 2 shown]
	s_and_saveexec_b64 s[2:3], vcc
	s_cbranch_execz .LBB7_11
; %bb.10:                               ;   in Loop: Header=BB7_9 Depth=2
	v_add_co_u32_e32 v36, vcc, s16, v16
	v_addc_co_u32_e32 v37, vcc, 0, v17, vcc
	global_load_dword v40, v[0:1], off
	v_add_co_u32_e32 v38, vcc, s20, v16
	v_addc_co_u32_e32 v39, vcc, 0, v17, vcc
	global_load_dwordx2 v[18:19], v[16:17], off
	global_load_dword v20, v[36:37], off
	global_load_dword v21, v[38:39], off
	s_waitcnt vmcnt(3)
	v_subrev_u32_e32 v36, s17, v40
	v_lshlrev_b32_e32 v36, 1, v36
.LBB7_11:                               ;   in Loop: Header=BB7_9 Depth=2
	s_or_b64 exec, exec, s[2:3]
	ds_write_b32 v25, v36
	s_waitcnt vmcnt(0)
	ds_write2_b64 v33, v[18:19], v[20:21] offset1:1
	s_waitcnt lgkmcnt(0)
	; wave barrier
	s_and_saveexec_b64 s[2:3], s[0:1]
	s_cbranch_execz .LBB7_8
; %bb.12:                               ;   in Loop: Header=BB7_9 Depth=2
	ds_read_b128 v[18:21], v24
	s_waitcnt lgkmcnt(0)
	v_ashrrev_i32_e32 v37, 31, v18
	v_mov_b32_e32 v36, v18
	v_lshlrev_b64 v[36:37], 3, v[36:37]
	v_ashrrev_i32_e32 v41, 31, v19
	v_add_co_u32_e32 v36, vcc, v27, v36
	v_addc_co_u32_e32 v37, vcc, v28, v37, vcc
	global_load_dwordx4 v[36:39], v[36:37], off
	v_mov_b32_e32 v40, v19
	v_lshlrev_b64 v[18:19], 3, v[40:41]
	v_ashrrev_i32_e32 v57, 31, v21
	v_add_co_u32_e32 v18, vcc, v27, v18
	v_addc_co_u32_e32 v19, vcc, v28, v19, vcc
	global_load_dwordx4 v[40:43], v[18:19], off
	v_ashrrev_i32_e32 v19, 31, v20
	v_mov_b32_e32 v18, v20
	ds_read_b128 v[44:47], v24 offset:16
	ds_read_b128 v[48:51], v26
	ds_read2_b64 v[52:55], v26 offset0:3 offset1:4
	v_lshlrev_b64 v[18:19], 3, v[18:19]
	v_mov_b32_e32 v56, v21
	v_add_co_u32_e32 v18, vcc, v27, v18
	v_addc_co_u32_e32 v19, vcc, v28, v19, vcc
	global_load_dwordx4 v[18:21], v[18:19], off
	s_waitcnt lgkmcnt(2)
	v_ashrrev_i32_e32 v59, 31, v44
	v_mov_b32_e32 v58, v44
	v_ashrrev_i32_e32 v61, 31, v45
	v_mov_b32_e32 v60, v45
	v_lshlrev_b64 v[44:45], 3, v[58:59]
	s_waitcnt vmcnt(2) lgkmcnt(1)
	v_fmac_f32_e32 v35, v48, v36
	v_fma_f32 v35, -v49, v37, v35
	v_fmac_f32_e32 v35, v50, v38
	v_fmac_f32_e32 v34, v49, v36
	v_fma_f32 v62, -v51, v39, v35
	v_lshlrev_b64 v[35:36], 3, v[56:57]
	v_fmac_f32_e32 v34, v48, v37
	v_add_co_u32_e32 v35, vcc, v27, v35
	v_addc_co_u32_e32 v36, vcc, v28, v36, vcc
	v_fmac_f32_e32 v34, v51, v38
	global_load_dwordx4 v[35:38], v[35:36], off
	v_add_co_u32_e32 v44, vcc, v27, v44
	v_addc_co_u32_e32 v45, vcc, v28, v45, vcc
	v_fmac_f32_e32 v34, v50, v39
	v_ashrrev_i32_e32 v49, 31, v46
	v_mov_b32_e32 v48, v46
	v_ashrrev_i32_e32 v51, 31, v47
	v_mov_b32_e32 v50, v47
	global_load_dwordx4 v[44:47], v[44:45], off
	v_lshlrev_b64 v[56:57], 3, v[60:61]
	v_lshlrev_b64 v[58:59], 3, v[48:49]
	v_add_co_u32_e32 v48, vcc, v27, v56
	v_addc_co_u32_e32 v49, vcc, v28, v57, vcc
	v_lshlrev_b64 v[60:61], 3, v[50:51]
	global_load_dwordx4 v[48:51], v[48:49], off
	v_add_co_u32_e32 v56, vcc, v27, v58
	v_addc_co_u32_e32 v57, vcc, v28, v59, vcc
	global_load_dwordx4 v[56:59], v[56:57], off
	s_waitcnt vmcnt(5) lgkmcnt(0)
	v_fmac_f32_e32 v62, v52, v40
	v_add_co_u32_e32 v60, vcc, v27, v60
	v_fmac_f32_e32 v34, v53, v40
	v_fma_f32 v39, -v53, v41, v62
	v_addc_co_u32_e32 v61, vcc, v28, v61, vcc
	v_fmac_f32_e32 v34, v52, v41
	v_fmac_f32_e32 v39, v54, v42
	;; [unrolled: 1-line block ×3, first 2 shown]
	v_fma_f32 v62, -v55, v43, v39
	global_load_dwordx4 v[39:42], v[60:61], off
	v_fmac_f32_e32 v34, v54, v43
	ds_read_b128 v[52:55], v26 offset:48
	s_waitcnt vmcnt(5) lgkmcnt(0)
	v_fmac_f32_e32 v62, v52, v18
	v_fmac_f32_e32 v34, v53, v18
	v_fma_f32 v18, -v53, v19, v62
	v_fmac_f32_e32 v34, v52, v19
	v_fmac_f32_e32 v18, v54, v20
	;; [unrolled: 1-line block ×3, first 2 shown]
	v_fma_f32 v43, -v55, v21, v18
	v_fmac_f32_e32 v34, v54, v21
	ds_read2_b64 v[18:21], v26 offset0:9 offset1:10
	ds_read_b128 v[52:55], v26 offset:96
	s_waitcnt vmcnt(4) lgkmcnt(1)
	v_fmac_f32_e32 v43, v18, v35
	v_fmac_f32_e32 v34, v19, v35
	v_fma_f32 v19, -v19, v36, v43
	v_fmac_f32_e32 v34, v18, v36
	v_fmac_f32_e32 v19, v20, v37
	;; [unrolled: 1-line block ×3, first 2 shown]
	v_fma_f32 v35, -v21, v38, v19
	v_fmac_f32_e32 v34, v20, v38
	ds_read2_b64 v[18:21], v26 offset0:15 offset1:16
	s_waitcnt vmcnt(3) lgkmcnt(1)
	v_fmac_f32_e32 v35, v52, v44
	v_fma_f32 v35, -v53, v45, v35
	v_fmac_f32_e32 v34, v53, v44
	v_fmac_f32_e32 v35, v54, v46
	v_fmac_f32_e32 v34, v52, v45
	v_fma_f32 v35, -v55, v47, v35
	v_fmac_f32_e32 v34, v55, v46
	v_fmac_f32_e32 v34, v54, v47
	s_waitcnt vmcnt(2) lgkmcnt(0)
	v_fmac_f32_e32 v35, v18, v48
	v_fma_f32 v43, -v19, v49, v35
	ds_read_b128 v[35:38], v26 offset:144
	v_fmac_f32_e32 v34, v19, v48
	v_fmac_f32_e32 v34, v18, v49
	;; [unrolled: 1-line block ×4, first 2 shown]
	v_fma_f32 v43, -v21, v51, v43
	v_fmac_f32_e32 v34, v20, v51
	ds_read2_b64 v[18:21], v26 offset0:21 offset1:22
	s_waitcnt vmcnt(1) lgkmcnt(1)
	v_fmac_f32_e32 v43, v35, v56
	v_fmac_f32_e32 v34, v36, v56
	v_fma_f32 v43, -v36, v57, v43
	v_fmac_f32_e32 v34, v35, v57
	v_fmac_f32_e32 v43, v37, v58
	v_fmac_f32_e32 v34, v38, v58
	v_fma_f32 v35, -v38, v59, v43
	v_fmac_f32_e32 v34, v37, v59
	s_waitcnt vmcnt(0) lgkmcnt(0)
	v_fmac_f32_e32 v35, v18, v39
	v_fmac_f32_e32 v34, v19, v39
	v_fma_f32 v35, -v19, v40, v35
	v_fmac_f32_e32 v34, v18, v40
	v_fmac_f32_e32 v35, v20, v41
	v_fmac_f32_e32 v34, v21, v41
	v_fma_f32 v35, -v21, v42, v35
	v_fmac_f32_e32 v34, v20, v42
	s_branch .LBB7_8
.LBB7_13:                               ;   in Loop: Header=BB7_6 Depth=1
	s_or_b64 exec, exec, s[18:19]
.LBB7_14:                               ;   in Loop: Header=BB7_6 Depth=1
	s_or_b64 exec, exec, s[14:15]
	s_and_saveexec_b64 s[2:3], s[0:1]
	s_cbranch_execz .LBB7_5
; %bb.15:                               ;   in Loop: Header=BB7_6 Depth=1
	v_mul_f32_e64 v0, v34, -v5
	v_mul_f32_e32 v1, v4, v34
	v_fmac_f32_e32 v0, v4, v35
	v_fmac_f32_e32 v1, v5, v35
	s_and_saveexec_b64 s[14:15], s[4:5]
	s_xor_b64 s[14:15], exec, s[14:15]
	s_cbranch_execz .LBB7_20
; %bb.16:                               ;   in Loop: Header=BB7_6 Depth=1
	s_mov_b64 s[18:19], -1
	s_and_b64 vcc, exec, s[6:7]
	s_cbranch_vccz .LBB7_18
; %bb.17:                               ;   in Loop: Header=BB7_6 Depth=1
	global_load_dwordx2 v[2:3], v[10:11], off
	s_mov_b64 s[18:19], 0
	s_waitcnt vmcnt(0)
	v_fma_f32 v14, v6, v2, v0
	v_fma_f32 v15, v7, v2, v1
	v_fma_f32 v14, -v7, v3, v14
	v_fmac_f32_e32 v15, v6, v3
	global_store_dwordx2 v[10:11], v[14:15], off
.LBB7_18:                               ;   in Loop: Header=BB7_6 Depth=1
	s_andn2_b64 vcc, exec, s[18:19]
	s_cbranch_vccnz .LBB7_20
; %bb.19:                               ;   in Loop: Header=BB7_6 Depth=1
	global_load_dwordx2 v[2:3], v[12:13], off
	s_waitcnt vmcnt(0)
	v_fmac_f32_e32 v0, v6, v2
	v_fmac_f32_e32 v1, v7, v2
	v_fma_f32 v0, -v7, v3, v0
	v_fmac_f32_e32 v1, v6, v3
	global_store_dwordx2 v[12:13], v[0:1], off
                                        ; implicit-def: $vgpr0
.LBB7_20:                               ;   in Loop: Header=BB7_6 Depth=1
	s_andn2_saveexec_b64 s[14:15], s[14:15]
	s_cbranch_execz .LBB7_5
; %bb.21:                               ;   in Loop: Header=BB7_6 Depth=1
	s_mov_b64 s[14:15], -1
	s_and_b64 vcc, exec, s[6:7]
	s_cbranch_vccz .LBB7_23
; %bb.22:                               ;   in Loop: Header=BB7_6 Depth=1
	global_store_dwordx2 v[10:11], v[0:1], off
	s_mov_b64 s[14:15], 0
.LBB7_23:                               ;   in Loop: Header=BB7_6 Depth=1
	s_andn2_b64 vcc, exec, s[14:15]
	s_cbranch_vccnz .LBB7_5
; %bb.24:                               ;   in Loop: Header=BB7_6 Depth=1
	global_store_dwordx2 v[12:13], v[0:1], off
	s_branch .LBB7_5
.LBB7_25:
	s_endpgm
	.section	.rodata,"a",@progbits
	.p2align	6, 0x0
	.amdhsa_kernel _ZN9rocsparseL29bsrmmnn_small_blockdim_kernelILj64ELj8ELj2Eli21rocsparse_complex_numIfES2_S2_S2_EEv20rocsparse_direction_T3_S4_llNS_24const_host_device_scalarIT7_EEPKT2_PKS4_PKT4_PKT5_llS7_PT6_ll16rocsparse_order_21rocsparse_index_base_b
		.amdhsa_group_segment_fixed_size 1792
		.amdhsa_private_segment_fixed_size 0
		.amdhsa_kernarg_size 392
		.amdhsa_user_sgpr_count 6
		.amdhsa_user_sgpr_private_segment_buffer 1
		.amdhsa_user_sgpr_dispatch_ptr 0
		.amdhsa_user_sgpr_queue_ptr 0
		.amdhsa_user_sgpr_kernarg_segment_ptr 1
		.amdhsa_user_sgpr_dispatch_id 0
		.amdhsa_user_sgpr_flat_scratch_init 0
		.amdhsa_user_sgpr_private_segment_size 0
		.amdhsa_uses_dynamic_stack 0
		.amdhsa_system_sgpr_private_segment_wavefront_offset 0
		.amdhsa_system_sgpr_workgroup_id_x 1
		.amdhsa_system_sgpr_workgroup_id_y 1
		.amdhsa_system_sgpr_workgroup_id_z 0
		.amdhsa_system_sgpr_workgroup_info 0
		.amdhsa_system_vgpr_workitem_id 0
		.amdhsa_next_free_vgpr 63
		.amdhsa_next_free_sgpr 61
		.amdhsa_reserve_vcc 1
		.amdhsa_reserve_flat_scratch 0
		.amdhsa_float_round_mode_32 0
		.amdhsa_float_round_mode_16_64 0
		.amdhsa_float_denorm_mode_32 3
		.amdhsa_float_denorm_mode_16_64 3
		.amdhsa_dx10_clamp 1
		.amdhsa_ieee_mode 1
		.amdhsa_fp16_overflow 0
		.amdhsa_exception_fp_ieee_invalid_op 0
		.amdhsa_exception_fp_denorm_src 0
		.amdhsa_exception_fp_ieee_div_zero 0
		.amdhsa_exception_fp_ieee_overflow 0
		.amdhsa_exception_fp_ieee_underflow 0
		.amdhsa_exception_fp_ieee_inexact 0
		.amdhsa_exception_int_div_zero 0
	.end_amdhsa_kernel
	.section	.text._ZN9rocsparseL29bsrmmnn_small_blockdim_kernelILj64ELj8ELj2Eli21rocsparse_complex_numIfES2_S2_S2_EEv20rocsparse_direction_T3_S4_llNS_24const_host_device_scalarIT7_EEPKT2_PKS4_PKT4_PKT5_llS7_PT6_ll16rocsparse_order_21rocsparse_index_base_b,"axG",@progbits,_ZN9rocsparseL29bsrmmnn_small_blockdim_kernelILj64ELj8ELj2Eli21rocsparse_complex_numIfES2_S2_S2_EEv20rocsparse_direction_T3_S4_llNS_24const_host_device_scalarIT7_EEPKT2_PKS4_PKT4_PKT5_llS7_PT6_ll16rocsparse_order_21rocsparse_index_base_b,comdat
.Lfunc_end7:
	.size	_ZN9rocsparseL29bsrmmnn_small_blockdim_kernelILj64ELj8ELj2Eli21rocsparse_complex_numIfES2_S2_S2_EEv20rocsparse_direction_T3_S4_llNS_24const_host_device_scalarIT7_EEPKT2_PKS4_PKT4_PKT5_llS7_PT6_ll16rocsparse_order_21rocsparse_index_base_b, .Lfunc_end7-_ZN9rocsparseL29bsrmmnn_small_blockdim_kernelILj64ELj8ELj2Eli21rocsparse_complex_numIfES2_S2_S2_EEv20rocsparse_direction_T3_S4_llNS_24const_host_device_scalarIT7_EEPKT2_PKS4_PKT4_PKT5_llS7_PT6_ll16rocsparse_order_21rocsparse_index_base_b
                                        ; -- End function
	.set _ZN9rocsparseL29bsrmmnn_small_blockdim_kernelILj64ELj8ELj2Eli21rocsparse_complex_numIfES2_S2_S2_EEv20rocsparse_direction_T3_S4_llNS_24const_host_device_scalarIT7_EEPKT2_PKS4_PKT4_PKT5_llS7_PT6_ll16rocsparse_order_21rocsparse_index_base_b.num_vgpr, 63
	.set _ZN9rocsparseL29bsrmmnn_small_blockdim_kernelILj64ELj8ELj2Eli21rocsparse_complex_numIfES2_S2_S2_EEv20rocsparse_direction_T3_S4_llNS_24const_host_device_scalarIT7_EEPKT2_PKS4_PKT4_PKT5_llS7_PT6_ll16rocsparse_order_21rocsparse_index_base_b.num_agpr, 0
	.set _ZN9rocsparseL29bsrmmnn_small_blockdim_kernelILj64ELj8ELj2Eli21rocsparse_complex_numIfES2_S2_S2_EEv20rocsparse_direction_T3_S4_llNS_24const_host_device_scalarIT7_EEPKT2_PKS4_PKT4_PKT5_llS7_PT6_ll16rocsparse_order_21rocsparse_index_base_b.numbered_sgpr, 28
	.set _ZN9rocsparseL29bsrmmnn_small_blockdim_kernelILj64ELj8ELj2Eli21rocsparse_complex_numIfES2_S2_S2_EEv20rocsparse_direction_T3_S4_llNS_24const_host_device_scalarIT7_EEPKT2_PKS4_PKT4_PKT5_llS7_PT6_ll16rocsparse_order_21rocsparse_index_base_b.num_named_barrier, 0
	.set _ZN9rocsparseL29bsrmmnn_small_blockdim_kernelILj64ELj8ELj2Eli21rocsparse_complex_numIfES2_S2_S2_EEv20rocsparse_direction_T3_S4_llNS_24const_host_device_scalarIT7_EEPKT2_PKS4_PKT4_PKT5_llS7_PT6_ll16rocsparse_order_21rocsparse_index_base_b.private_seg_size, 0
	.set _ZN9rocsparseL29bsrmmnn_small_blockdim_kernelILj64ELj8ELj2Eli21rocsparse_complex_numIfES2_S2_S2_EEv20rocsparse_direction_T3_S4_llNS_24const_host_device_scalarIT7_EEPKT2_PKS4_PKT4_PKT5_llS7_PT6_ll16rocsparse_order_21rocsparse_index_base_b.uses_vcc, 1
	.set _ZN9rocsparseL29bsrmmnn_small_blockdim_kernelILj64ELj8ELj2Eli21rocsparse_complex_numIfES2_S2_S2_EEv20rocsparse_direction_T3_S4_llNS_24const_host_device_scalarIT7_EEPKT2_PKS4_PKT4_PKT5_llS7_PT6_ll16rocsparse_order_21rocsparse_index_base_b.uses_flat_scratch, 0
	.set _ZN9rocsparseL29bsrmmnn_small_blockdim_kernelILj64ELj8ELj2Eli21rocsparse_complex_numIfES2_S2_S2_EEv20rocsparse_direction_T3_S4_llNS_24const_host_device_scalarIT7_EEPKT2_PKS4_PKT4_PKT5_llS7_PT6_ll16rocsparse_order_21rocsparse_index_base_b.has_dyn_sized_stack, 0
	.set _ZN9rocsparseL29bsrmmnn_small_blockdim_kernelILj64ELj8ELj2Eli21rocsparse_complex_numIfES2_S2_S2_EEv20rocsparse_direction_T3_S4_llNS_24const_host_device_scalarIT7_EEPKT2_PKS4_PKT4_PKT5_llS7_PT6_ll16rocsparse_order_21rocsparse_index_base_b.has_recursion, 0
	.set _ZN9rocsparseL29bsrmmnn_small_blockdim_kernelILj64ELj8ELj2Eli21rocsparse_complex_numIfES2_S2_S2_EEv20rocsparse_direction_T3_S4_llNS_24const_host_device_scalarIT7_EEPKT2_PKS4_PKT4_PKT5_llS7_PT6_ll16rocsparse_order_21rocsparse_index_base_b.has_indirect_call, 0
	.section	.AMDGPU.csdata,"",@progbits
; Kernel info:
; codeLenInByte = 1900
; TotalNumSgprs: 32
; NumVgprs: 63
; ScratchSize: 0
; MemoryBound: 0
; FloatMode: 240
; IeeeMode: 1
; LDSByteSize: 1792 bytes/workgroup (compile time only)
; SGPRBlocks: 8
; VGPRBlocks: 15
; NumSGPRsForWavesPerEU: 65
; NumVGPRsForWavesPerEU: 63
; Occupancy: 4
; WaveLimiterHint : 0
; COMPUTE_PGM_RSRC2:SCRATCH_EN: 0
; COMPUTE_PGM_RSRC2:USER_SGPR: 6
; COMPUTE_PGM_RSRC2:TRAP_HANDLER: 0
; COMPUTE_PGM_RSRC2:TGID_X_EN: 1
; COMPUTE_PGM_RSRC2:TGID_Y_EN: 1
; COMPUTE_PGM_RSRC2:TGID_Z_EN: 0
; COMPUTE_PGM_RSRC2:TIDIG_COMP_CNT: 0
	.section	.text._ZN9rocsparseL29bsrmmnn_small_blockdim_kernelILj64ELj8ELj2Ell21rocsparse_complex_numIfES2_S2_S2_EEv20rocsparse_direction_T3_S4_llNS_24const_host_device_scalarIT7_EEPKT2_PKS4_PKT4_PKT5_llS7_PT6_ll16rocsparse_order_21rocsparse_index_base_b,"axG",@progbits,_ZN9rocsparseL29bsrmmnn_small_blockdim_kernelILj64ELj8ELj2Ell21rocsparse_complex_numIfES2_S2_S2_EEv20rocsparse_direction_T3_S4_llNS_24const_host_device_scalarIT7_EEPKT2_PKS4_PKT4_PKT5_llS7_PT6_ll16rocsparse_order_21rocsparse_index_base_b,comdat
	.globl	_ZN9rocsparseL29bsrmmnn_small_blockdim_kernelILj64ELj8ELj2Ell21rocsparse_complex_numIfES2_S2_S2_EEv20rocsparse_direction_T3_S4_llNS_24const_host_device_scalarIT7_EEPKT2_PKS4_PKT4_PKT5_llS7_PT6_ll16rocsparse_order_21rocsparse_index_base_b ; -- Begin function _ZN9rocsparseL29bsrmmnn_small_blockdim_kernelILj64ELj8ELj2Ell21rocsparse_complex_numIfES2_S2_S2_EEv20rocsparse_direction_T3_S4_llNS_24const_host_device_scalarIT7_EEPKT2_PKS4_PKT4_PKT5_llS7_PT6_ll16rocsparse_order_21rocsparse_index_base_b
	.p2align	8
	.type	_ZN9rocsparseL29bsrmmnn_small_blockdim_kernelILj64ELj8ELj2Ell21rocsparse_complex_numIfES2_S2_S2_EEv20rocsparse_direction_T3_S4_llNS_24const_host_device_scalarIT7_EEPKT2_PKS4_PKT4_PKT5_llS7_PT6_ll16rocsparse_order_21rocsparse_index_base_b,@function
_ZN9rocsparseL29bsrmmnn_small_blockdim_kernelILj64ELj8ELj2Ell21rocsparse_complex_numIfES2_S2_S2_EEv20rocsparse_direction_T3_S4_llNS_24const_host_device_scalarIT7_EEPKT2_PKS4_PKT4_PKT5_llS7_PT6_ll16rocsparse_order_21rocsparse_index_base_b: ; @_ZN9rocsparseL29bsrmmnn_small_blockdim_kernelILj64ELj8ELj2Ell21rocsparse_complex_numIfES2_S2_S2_EEv20rocsparse_direction_T3_S4_llNS_24const_host_device_scalarIT7_EEPKT2_PKS4_PKT4_PKT5_llS7_PT6_ll16rocsparse_order_21rocsparse_index_base_b
; %bb.0:
	s_load_dwordx2 s[0:1], s[4:5], 0x28
	s_load_dwordx2 s[2:3], s[4:5], 0x60
	s_load_dwordx4 s[20:23], s[4:5], 0x80
	s_add_u32 s8, s4, 40
	s_addc_u32 s9, s5, 0
	s_add_u32 s10, s4, 0x60
	s_addc_u32 s11, s5, 0
	s_waitcnt lgkmcnt(0)
	s_bitcmp1_b32 s22, 0
	s_cselect_b32 s1, s9, s1
	s_cselect_b32 s0, s8, s0
	v_mov_b32_e32 v1, s0
	v_mov_b32_e32 v2, s1
	flat_load_dwordx2 v[4:5], v[1:2]
	s_cselect_b32 s0, s11, s3
	s_cselect_b32 s1, s10, s2
	v_mov_b32_e32 v1, s1
	v_mov_b32_e32 v2, s0
	flat_load_dwordx2 v[6:7], v[1:2]
	s_waitcnt vmcnt(0) lgkmcnt(0)
	v_cmp_eq_f32_e32 vcc, 0, v4
	v_cmp_eq_f32_e64 s[0:1], 0, v5
	s_and_b64 s[8:9], vcc, s[0:1]
	s_mov_b64 s[0:1], -1
	s_and_saveexec_b64 s[2:3], s[8:9]
; %bb.1:
	v_cmp_neq_f32_e32 vcc, 1.0, v6
	v_cmp_neq_f32_e64 s[0:1], 0, v7
	s_or_b64 s[0:1], vcc, s[0:1]
	s_orn2_b64 s[0:1], s[0:1], exec
; %bb.2:
	s_or_b64 exec, exec, s[2:3]
	s_and_saveexec_b64 s[2:3], s[0:1]
	s_cbranch_execz .LBB8_25
; %bb.3:
	s_load_dword s0, s[4:5], 0x90
	s_load_dwordx4 s[16:19], s[4:5], 0x8
	s_add_u32 s1, s4, 0x90
	s_addc_u32 s3, s5, 0
	v_mov_b32_e32 v9, 0
	s_waitcnt lgkmcnt(0)
	s_cmp_lt_u32 s6, s0
	s_cselect_b32 s2, 12, 18
	s_add_u32 s2, s1, s2
	s_addc_u32 s3, s3, 0
	global_load_ushort v2, v9, s[2:3]
	s_waitcnt vmcnt(0)
	v_mul_lo_u32 v1, s6, v2
	v_add_u32_e32 v1, v1, v0
	v_lshrrev_b32_e32 v8, 4, v1
	v_cmp_gt_i64_e32 vcc, s[16:17], v[8:9]
	s_and_b64 exec, exec, vcc
	s_cbranch_execz .LBB8_25
; %bb.4:
	s_load_dwordx2 s[2:3], s[4:5], 0x50
	s_load_dwordx4 s[24:27], s[4:5], 0x68
	v_and_b32_e32 v24, 7, v1
	v_lshl_or_b32 v10, s7, 3, v24
	v_mul_lo_u32 v12, s0, v2
	s_waitcnt lgkmcnt(0)
	v_mad_u64_u32 v[14:15], s[6:7], s2, v10, 0
	s_load_dwordx8 s[8:15], s[4:5], 0x30
	v_mov_b32_e32 v11, v9
	v_mov_b32_e32 v2, v15
	v_mad_u64_u32 v[2:3], s[0:1], s3, v10, v[2:3]
	v_lshrrev_b32_e32 v25, 4, v12
	v_mov_b32_e32 v12, s25
	v_mov_b32_e32 v15, v2
	v_lshlrev_b64 v[2:3], 3, v[10:11]
	v_and_b32_e32 v13, 8, v1
	v_add_co_u32_e32 v18, vcc, s24, v2
	v_addc_co_u32_e32 v19, vcc, v12, v3, vcc
	s_waitcnt lgkmcnt(0)
	v_mov_b32_e32 v2, s13
	v_add_co_u32_e32 v20, vcc, s12, v13
	v_addc_co_u32_e32 v21, vcc, 0, v2, vcc
	v_lshrrev_b32_e32 v12, 3, v1
	v_lshrrev_b32_e32 v0, 3, v0
	v_mov_b32_e32 v2, 0x600
	v_cmp_neq_f32_e32 vcc, 0, v6
	v_cmp_neq_f32_e64 s[0:1], 0, v7
	s_load_dword s2, s[4:5], 0x0
	v_lshl_or_b32 v26, v0, 6, v2
	s_or_b64 s[4:5], vcc, s[0:1]
	v_mad_u64_u32 v[2:3], s[0:1], v12, s26, 0
	v_mul_u32_u24_e32 v28, 0xc0, v0
	v_add_co_u32_e32 v23, vcc, v20, v13
	v_mov_b32_e32 v0, v3
	v_mad_u64_u32 v[12:13], s[0:1], v12, s27, v[0:1]
	v_mad_u64_u32 v[16:17], s[0:1], s26, v10, 0
	s_cmp_lg_u32 s20, 1
	v_mov_b32_e32 v3, v12
	v_mov_b32_e32 v0, v17
	s_cselect_b64 s[6:7], -1, 0
	s_waitcnt lgkmcnt(0)
	s_cmp_eq_u32 s2, 0
	v_lshlrev_b64 v[2:3], 3, v[2:3]
	v_mad_u64_u32 v[12:13], s[2:3], s27, v10, v[0:1]
	v_addc_co_u32_e32 v29, vcc, 0, v21, vcc
	v_cmp_gt_i64_e64 s[0:1], s[18:19], v[10:11]
	v_add_co_u32_e32 v10, vcc, v18, v2
	v_addc_co_u32_e32 v11, vcc, v19, v3, vcc
	v_and_b32_e32 v0, -8, v1
	v_mov_b32_e32 v17, v12
	v_mov_b32_e32 v1, s25
	v_add_co_u32_e32 v2, vcc, s24, v0
	v_addc_co_u32_e32 v3, vcc, 0, v1, vcc
	v_lshlrev_b64 v[0:1], 3, v[16:17]
	v_mul_u32_u24_e32 v22, 24, v24
	v_add_co_u32_e32 v12, vcc, v2, v0
	v_addc_co_u32_e32 v13, vcc, v3, v1, vcc
	v_lshlrev_b64 v[0:1], 3, v[14:15]
	s_cselect_b64 vcc, -1, 0
	v_cndmask_b32_e32 v29, v21, v29, vcc
	v_cndmask_b32_e32 v30, v20, v23, vcc
	s_and_b64 s[2:3], vcc, exec
	v_mov_b32_e32 v2, s15
	v_add_co_u32_e32 v31, vcc, s14, v0
	v_addc_co_u32_e32 v32, vcc, v2, v1, vcc
	v_subrev_co_u32_e32 v33, vcc, s21, v24
	s_mov_b32 s22, s21
	v_lshl_or_b32 v27, v24, 3, v26
	s_cselect_b32 s23, 8, 16
	s_cselect_b32 s24, 12, 20
	v_subb_co_u32_e64 v34, s[2:3], 0, 0, vcc
	s_mov_b64 s[12:13], 0
	v_add_u32_e32 v35, v28, v22
	s_branch .LBB8_6
.LBB8_5:                                ;   in Loop: Header=BB8_6 Depth=1
	s_or_b64 exec, exec, s[2:3]
	v_add_co_u32_e32 v8, vcc, v8, v25
	v_addc_co_u32_e32 v9, vcc, 0, v9, vcc
	v_cmp_le_i64_e32 vcc, s[16:17], v[8:9]
	s_or_b64 s[12:13], vcc, s[12:13]
	s_andn2_b64 exec, exec, s[12:13]
	s_cbranch_execz .LBB8_25
.LBB8_6:                                ; =>This Loop Header: Depth=1
                                        ;     Child Loop BB8_9 Depth 2
	v_lshlrev_b64 v[0:1], 3, v[8:9]
	v_mov_b32_e32 v2, s9
	v_add_co_u32_e32 v0, vcc, s8, v0
	v_addc_co_u32_e32 v1, vcc, v2, v1, vcc
	global_load_dwordx4 v[0:3], v[0:1], off
	v_mov_b32_e32 v36, 0
	v_mov_b32_e32 v37, 0
	s_waitcnt vmcnt(0)
	v_cmp_lt_i64_e32 vcc, v[0:1], v[2:3]
	s_and_saveexec_b64 s[14:15], vcc
	s_cbranch_execz .LBB8_14
; %bb.7:                                ;   in Loop: Header=BB8_6 Depth=1
	v_subrev_co_u32_e32 v2, vcc, s22, v2
	v_subbrev_co_u32_e32 v3, vcc, 0, v3, vcc
	v_subrev_co_u32_e32 v14, vcc, s22, v0
	v_subbrev_co_u32_e32 v15, vcc, 0, v1, vcc
	v_add_co_u32_e32 v16, vcc, v33, v0
	v_addc_co_u32_e32 v17, vcc, v34, v1, vcc
	v_lshlrev_b64 v[0:1], 3, v[16:17]
	v_mov_b32_e32 v18, s11
	v_add_co_u32_e32 v0, vcc, s10, v0
	v_lshlrev_b64 v[16:17], 5, v[16:17]
	v_addc_co_u32_e32 v1, vcc, v18, v1, vcc
	v_add_co_u32_e32 v16, vcc, v30, v16
	v_addc_co_u32_e32 v17, vcc, v29, v17, vcc
	v_mov_b32_e32 v36, 0
	s_mov_b64 s[18:19], 0
	v_mov_b32_e32 v37, 0
	s_branch .LBB8_9
.LBB8_8:                                ;   in Loop: Header=BB8_9 Depth=2
	s_or_b64 exec, exec, s[20:21]
	v_add_co_u32_e32 v14, vcc, 8, v14
	v_addc_co_u32_e32 v15, vcc, 0, v15, vcc
	v_add_co_u32_e32 v0, vcc, 64, v0
	v_addc_co_u32_e32 v1, vcc, 0, v1, vcc
	v_cmp_ge_i64_e64 s[2:3], v[14:15], v[2:3]
	v_add_co_u32_e32 v16, vcc, 0x100, v16
	s_or_b64 s[18:19], s[2:3], s[18:19]
	v_addc_co_u32_e32 v17, vcc, 0, v17, vcc
	s_andn2_b64 exec, exec, s[18:19]
	s_cbranch_execz .LBB8_13
.LBB8_9:                                ;   Parent Loop BB8_6 Depth=1
                                        ; =>  This Inner Loop Header: Depth=2
	v_add_co_u32_e32 v18, vcc, v24, v14
	v_addc_co_u32_e32 v19, vcc, 0, v15, vcc
	v_cmp_lt_i64_e32 vcc, v[18:19], v[2:3]
	v_mov_b32_e32 v22, 0
	v_mov_b32_e32 v23, 0
	;; [unrolled: 1-line block ×6, first 2 shown]
	s_and_saveexec_b64 s[2:3], vcc
	s_cbranch_execz .LBB8_11
; %bb.10:                               ;   in Loop: Header=BB8_9 Depth=2
	global_load_dwordx2 v[22:23], v[0:1], off
	v_add_co_u32_e32 v38, vcc, s23, v16
	v_addc_co_u32_e32 v39, vcc, 0, v17, vcc
	v_add_co_u32_e32 v40, vcc, s24, v16
	v_addc_co_u32_e32 v41, vcc, 0, v17, vcc
	global_load_dwordx2 v[18:19], v[16:17], off
	global_load_dword v20, v[38:39], off
	global_load_dword v21, v[40:41], off
	s_waitcnt vmcnt(3)
	v_subrev_co_u32_e32 v22, vcc, s22, v22
	v_subbrev_co_u32_e32 v23, vcc, 0, v23, vcc
	v_lshlrev_b64 v[22:23], 1, v[22:23]
.LBB8_11:                               ;   in Loop: Header=BB8_9 Depth=2
	s_or_b64 exec, exec, s[2:3]
	ds_write_b64 v27, v[22:23]
	s_waitcnt vmcnt(0)
	ds_write2_b64 v35, v[18:19], v[20:21] offset1:1
	s_waitcnt lgkmcnt(0)
	; wave barrier
	s_and_saveexec_b64 s[20:21], s[0:1]
	s_cbranch_execz .LBB8_8
; %bb.12:                               ;   in Loop: Header=BB8_9 Depth=2
	ds_read_b128 v[18:21], v26
	s_waitcnt lgkmcnt(0)
	v_lshlrev_b64 v[18:19], 3, v[18:19]
	v_add_co_u32_e32 v18, vcc, v31, v18
	v_addc_co_u32_e32 v19, vcc, v32, v19, vcc
	global_load_dwordx4 v[38:41], v[18:19], off
	v_lshlrev_b64 v[18:19], 3, v[20:21]
	v_add_co_u32_e32 v18, vcc, v31, v18
	v_addc_co_u32_e32 v19, vcc, v32, v19, vcc
	global_load_dwordx4 v[18:21], v[18:19], off
	ds_read_b128 v[42:45], v26 offset:16
	ds_read_b128 v[46:49], v28
	ds_read_b128 v[50:53], v26 offset:32
	ds_read_b128 v[58:61], v26 offset:48
	s_waitcnt lgkmcnt(3)
	v_lshlrev_b64 v[22:23], 3, v[42:43]
	v_add_co_u32_e32 v22, vcc, v31, v22
	v_addc_co_u32_e32 v23, vcc, v32, v23, vcc
	global_load_dwordx4 v[54:57], v[22:23], off
	v_lshlrev_b64 v[22:23], 3, v[44:45]
	v_add_co_u32_e32 v22, vcc, v31, v22
	v_addc_co_u32_e32 v23, vcc, v32, v23, vcc
	global_load_dwordx4 v[42:45], v[22:23], off
	s_waitcnt vmcnt(3) lgkmcnt(2)
	v_fmac_f32_e32 v37, v46, v38
	v_fma_f32 v22, -v47, v39, v37
	v_fmac_f32_e32 v22, v48, v40
	v_fma_f32 v64, -v49, v41, v22
	s_waitcnt lgkmcnt(1)
	v_lshlrev_b64 v[22:23], 3, v[50:51]
	v_fmac_f32_e32 v36, v47, v38
	v_fmac_f32_e32 v36, v46, v39
	v_add_co_u32_e32 v22, vcc, v31, v22
	v_fmac_f32_e32 v36, v49, v40
	v_lshlrev_b64 v[50:51], 3, v[52:53]
	v_addc_co_u32_e32 v23, vcc, v32, v23, vcc
	v_fmac_f32_e32 v36, v48, v41
	global_load_dwordx4 v[46:49], v[22:23], off
	v_add_co_u32_e32 v50, vcc, v31, v50
	v_addc_co_u32_e32 v51, vcc, v32, v51, vcc
	ds_read2_b64 v[37:40], v28 offset0:3 offset1:4
	global_load_dwordx4 v[50:53], v[50:51], off
	s_waitcnt lgkmcnt(1)
	v_lshlrev_b64 v[22:23], 3, v[58:59]
	v_lshlrev_b64 v[58:59], 3, v[60:61]
	v_add_co_u32_e64 v22, s[2:3], v31, v22
	v_addc_co_u32_e64 v23, vcc, v32, v23, s[2:3]
	v_add_co_u32_e32 v62, vcc, v31, v58
	v_addc_co_u32_e32 v63, vcc, v32, v59, vcc
	global_load_dwordx4 v[58:61], v[22:23], off
	s_waitcnt vmcnt(5) lgkmcnt(0)
	v_fmac_f32_e32 v64, v37, v18
	v_fmac_f32_e32 v36, v38, v18
	v_fma_f32 v18, -v38, v19, v64
	v_fmac_f32_e32 v36, v37, v19
	v_fmac_f32_e32 v18, v39, v20
	;; [unrolled: 1-line block ×3, first 2 shown]
	v_fma_f32 v22, -v40, v21, v18
	v_fmac_f32_e32 v36, v39, v21
	global_load_dwordx4 v[18:21], v[62:63], off
	ds_read_b128 v[37:40], v28 offset:48
	s_waitcnt vmcnt(5) lgkmcnt(0)
	v_fmac_f32_e32 v22, v37, v54
	v_fmac_f32_e32 v36, v38, v54
	v_fma_f32 v22, -v38, v55, v22
	v_fmac_f32_e32 v36, v37, v55
	v_fmac_f32_e32 v22, v39, v56
	v_fmac_f32_e32 v36, v40, v56
	v_fma_f32 v22, -v40, v57, v22
	v_fmac_f32_e32 v36, v39, v57
	ds_read2_b64 v[37:40], v28 offset0:9 offset1:10
	ds_read_b128 v[54:57], v28 offset:96
	s_waitcnt vmcnt(4) lgkmcnt(1)
	v_fmac_f32_e32 v22, v37, v42
	v_fmac_f32_e32 v36, v38, v42
	v_fma_f32 v22, -v38, v43, v22
	v_fmac_f32_e32 v36, v37, v43
	v_fmac_f32_e32 v22, v39, v44
	;; [unrolled: 1-line block ×3, first 2 shown]
	v_fma_f32 v22, -v40, v45, v22
	v_fmac_f32_e32 v36, v39, v45
	ds_read2_b64 v[37:40], v28 offset0:15 offset1:16
	ds_read_b128 v[41:44], v28 offset:144
	s_waitcnt vmcnt(3) lgkmcnt(2)
	v_fmac_f32_e32 v22, v54, v46
	v_fmac_f32_e32 v36, v55, v46
	v_fma_f32 v22, -v55, v47, v22
	v_fmac_f32_e32 v36, v54, v47
	v_fmac_f32_e32 v22, v56, v48
	;; [unrolled: 1-line block ×3, first 2 shown]
	v_fma_f32 v22, -v57, v49, v22
	v_fmac_f32_e32 v36, v56, v49
	s_waitcnt vmcnt(2) lgkmcnt(1)
	v_fmac_f32_e32 v22, v37, v50
	v_fmac_f32_e32 v36, v38, v50
	v_fma_f32 v22, -v38, v51, v22
	v_fmac_f32_e32 v36, v37, v51
	v_fmac_f32_e32 v22, v39, v52
	;; [unrolled: 1-line block ×3, first 2 shown]
	ds_read2_b64 v[45:48], v28 offset0:21 offset1:22
	v_fma_f32 v22, -v40, v53, v22
	v_fmac_f32_e32 v36, v39, v53
	s_waitcnt vmcnt(1) lgkmcnt(1)
	v_fmac_f32_e32 v22, v41, v58
	v_fmac_f32_e32 v36, v42, v58
	v_fma_f32 v22, -v42, v59, v22
	v_fmac_f32_e32 v36, v41, v59
	v_fmac_f32_e32 v22, v43, v60
	;; [unrolled: 1-line block ×3, first 2 shown]
	v_fma_f32 v22, -v44, v61, v22
	v_fmac_f32_e32 v36, v43, v61
	s_waitcnt vmcnt(0) lgkmcnt(0)
	v_fmac_f32_e32 v22, v45, v18
	v_fmac_f32_e32 v36, v46, v18
	v_fma_f32 v18, -v46, v19, v22
	v_fmac_f32_e32 v36, v45, v19
	v_fmac_f32_e32 v18, v47, v20
	;; [unrolled: 1-line block ×3, first 2 shown]
	v_fma_f32 v37, -v48, v21, v18
	v_fmac_f32_e32 v36, v47, v21
	s_branch .LBB8_8
.LBB8_13:                               ;   in Loop: Header=BB8_6 Depth=1
	s_or_b64 exec, exec, s[18:19]
.LBB8_14:                               ;   in Loop: Header=BB8_6 Depth=1
	s_or_b64 exec, exec, s[14:15]
	s_and_saveexec_b64 s[2:3], s[0:1]
	s_cbranch_execz .LBB8_5
; %bb.15:                               ;   in Loop: Header=BB8_6 Depth=1
	v_mul_f32_e64 v0, v36, -v5
	v_mul_f32_e32 v1, v4, v36
	v_fmac_f32_e32 v0, v4, v37
	v_fmac_f32_e32 v1, v5, v37
	s_and_saveexec_b64 s[14:15], s[4:5]
	s_xor_b64 s[14:15], exec, s[14:15]
	s_cbranch_execz .LBB8_20
; %bb.16:                               ;   in Loop: Header=BB8_6 Depth=1
	s_mov_b64 s[18:19], -1
	s_and_b64 vcc, exec, s[6:7]
	s_cbranch_vccz .LBB8_18
; %bb.17:                               ;   in Loop: Header=BB8_6 Depth=1
	global_load_dwordx2 v[2:3], v[10:11], off
	s_mov_b64 s[18:19], 0
	s_waitcnt vmcnt(0)
	v_fma_f32 v14, v6, v2, v0
	v_fma_f32 v15, v7, v2, v1
	v_fma_f32 v14, -v7, v3, v14
	v_fmac_f32_e32 v15, v6, v3
	global_store_dwordx2 v[10:11], v[14:15], off
.LBB8_18:                               ;   in Loop: Header=BB8_6 Depth=1
	s_andn2_b64 vcc, exec, s[18:19]
	s_cbranch_vccnz .LBB8_20
; %bb.19:                               ;   in Loop: Header=BB8_6 Depth=1
	global_load_dwordx2 v[2:3], v[12:13], off
	s_waitcnt vmcnt(0)
	v_fmac_f32_e32 v0, v6, v2
	v_fmac_f32_e32 v1, v7, v2
	v_fma_f32 v0, -v7, v3, v0
	v_fmac_f32_e32 v1, v6, v3
	global_store_dwordx2 v[12:13], v[0:1], off
                                        ; implicit-def: $vgpr0
.LBB8_20:                               ;   in Loop: Header=BB8_6 Depth=1
	s_andn2_saveexec_b64 s[14:15], s[14:15]
	s_cbranch_execz .LBB8_5
; %bb.21:                               ;   in Loop: Header=BB8_6 Depth=1
	s_mov_b64 s[14:15], -1
	s_and_b64 vcc, exec, s[6:7]
	s_cbranch_vccz .LBB8_23
; %bb.22:                               ;   in Loop: Header=BB8_6 Depth=1
	global_store_dwordx2 v[10:11], v[0:1], off
	s_mov_b64 s[14:15], 0
.LBB8_23:                               ;   in Loop: Header=BB8_6 Depth=1
	s_andn2_b64 vcc, exec, s[14:15]
	s_cbranch_vccnz .LBB8_5
; %bb.24:                               ;   in Loop: Header=BB8_6 Depth=1
	global_store_dwordx2 v[12:13], v[0:1], off
	s_branch .LBB8_5
.LBB8_25:
	s_endpgm
	.section	.rodata,"a",@progbits
	.p2align	6, 0x0
	.amdhsa_kernel _ZN9rocsparseL29bsrmmnn_small_blockdim_kernelILj64ELj8ELj2Ell21rocsparse_complex_numIfES2_S2_S2_EEv20rocsparse_direction_T3_S4_llNS_24const_host_device_scalarIT7_EEPKT2_PKS4_PKT4_PKT5_llS7_PT6_ll16rocsparse_order_21rocsparse_index_base_b
		.amdhsa_group_segment_fixed_size 2048
		.amdhsa_private_segment_fixed_size 0
		.amdhsa_kernarg_size 400
		.amdhsa_user_sgpr_count 6
		.amdhsa_user_sgpr_private_segment_buffer 1
		.amdhsa_user_sgpr_dispatch_ptr 0
		.amdhsa_user_sgpr_queue_ptr 0
		.amdhsa_user_sgpr_kernarg_segment_ptr 1
		.amdhsa_user_sgpr_dispatch_id 0
		.amdhsa_user_sgpr_flat_scratch_init 0
		.amdhsa_user_sgpr_private_segment_size 0
		.amdhsa_uses_dynamic_stack 0
		.amdhsa_system_sgpr_private_segment_wavefront_offset 0
		.amdhsa_system_sgpr_workgroup_id_x 1
		.amdhsa_system_sgpr_workgroup_id_y 1
		.amdhsa_system_sgpr_workgroup_id_z 0
		.amdhsa_system_sgpr_workgroup_info 0
		.amdhsa_system_vgpr_workitem_id 0
		.amdhsa_next_free_vgpr 65
		.amdhsa_next_free_sgpr 61
		.amdhsa_reserve_vcc 1
		.amdhsa_reserve_flat_scratch 0
		.amdhsa_float_round_mode_32 0
		.amdhsa_float_round_mode_16_64 0
		.amdhsa_float_denorm_mode_32 3
		.amdhsa_float_denorm_mode_16_64 3
		.amdhsa_dx10_clamp 1
		.amdhsa_ieee_mode 1
		.amdhsa_fp16_overflow 0
		.amdhsa_exception_fp_ieee_invalid_op 0
		.amdhsa_exception_fp_denorm_src 0
		.amdhsa_exception_fp_ieee_div_zero 0
		.amdhsa_exception_fp_ieee_overflow 0
		.amdhsa_exception_fp_ieee_underflow 0
		.amdhsa_exception_fp_ieee_inexact 0
		.amdhsa_exception_int_div_zero 0
	.end_amdhsa_kernel
	.section	.text._ZN9rocsparseL29bsrmmnn_small_blockdim_kernelILj64ELj8ELj2Ell21rocsparse_complex_numIfES2_S2_S2_EEv20rocsparse_direction_T3_S4_llNS_24const_host_device_scalarIT7_EEPKT2_PKS4_PKT4_PKT5_llS7_PT6_ll16rocsparse_order_21rocsparse_index_base_b,"axG",@progbits,_ZN9rocsparseL29bsrmmnn_small_blockdim_kernelILj64ELj8ELj2Ell21rocsparse_complex_numIfES2_S2_S2_EEv20rocsparse_direction_T3_S4_llNS_24const_host_device_scalarIT7_EEPKT2_PKS4_PKT4_PKT5_llS7_PT6_ll16rocsparse_order_21rocsparse_index_base_b,comdat
.Lfunc_end8:
	.size	_ZN9rocsparseL29bsrmmnn_small_blockdim_kernelILj64ELj8ELj2Ell21rocsparse_complex_numIfES2_S2_S2_EEv20rocsparse_direction_T3_S4_llNS_24const_host_device_scalarIT7_EEPKT2_PKS4_PKT4_PKT5_llS7_PT6_ll16rocsparse_order_21rocsparse_index_base_b, .Lfunc_end8-_ZN9rocsparseL29bsrmmnn_small_blockdim_kernelILj64ELj8ELj2Ell21rocsparse_complex_numIfES2_S2_S2_EEv20rocsparse_direction_T3_S4_llNS_24const_host_device_scalarIT7_EEPKT2_PKS4_PKT4_PKT5_llS7_PT6_ll16rocsparse_order_21rocsparse_index_base_b
                                        ; -- End function
	.set _ZN9rocsparseL29bsrmmnn_small_blockdim_kernelILj64ELj8ELj2Ell21rocsparse_complex_numIfES2_S2_S2_EEv20rocsparse_direction_T3_S4_llNS_24const_host_device_scalarIT7_EEPKT2_PKS4_PKT4_PKT5_llS7_PT6_ll16rocsparse_order_21rocsparse_index_base_b.num_vgpr, 65
	.set _ZN9rocsparseL29bsrmmnn_small_blockdim_kernelILj64ELj8ELj2Ell21rocsparse_complex_numIfES2_S2_S2_EEv20rocsparse_direction_T3_S4_llNS_24const_host_device_scalarIT7_EEPKT2_PKS4_PKT4_PKT5_llS7_PT6_ll16rocsparse_order_21rocsparse_index_base_b.num_agpr, 0
	.set _ZN9rocsparseL29bsrmmnn_small_blockdim_kernelILj64ELj8ELj2Ell21rocsparse_complex_numIfES2_S2_S2_EEv20rocsparse_direction_T3_S4_llNS_24const_host_device_scalarIT7_EEPKT2_PKS4_PKT4_PKT5_llS7_PT6_ll16rocsparse_order_21rocsparse_index_base_b.numbered_sgpr, 28
	.set _ZN9rocsparseL29bsrmmnn_small_blockdim_kernelILj64ELj8ELj2Ell21rocsparse_complex_numIfES2_S2_S2_EEv20rocsparse_direction_T3_S4_llNS_24const_host_device_scalarIT7_EEPKT2_PKS4_PKT4_PKT5_llS7_PT6_ll16rocsparse_order_21rocsparse_index_base_b.num_named_barrier, 0
	.set _ZN9rocsparseL29bsrmmnn_small_blockdim_kernelILj64ELj8ELj2Ell21rocsparse_complex_numIfES2_S2_S2_EEv20rocsparse_direction_T3_S4_llNS_24const_host_device_scalarIT7_EEPKT2_PKS4_PKT4_PKT5_llS7_PT6_ll16rocsparse_order_21rocsparse_index_base_b.private_seg_size, 0
	.set _ZN9rocsparseL29bsrmmnn_small_blockdim_kernelILj64ELj8ELj2Ell21rocsparse_complex_numIfES2_S2_S2_EEv20rocsparse_direction_T3_S4_llNS_24const_host_device_scalarIT7_EEPKT2_PKS4_PKT4_PKT5_llS7_PT6_ll16rocsparse_order_21rocsparse_index_base_b.uses_vcc, 1
	.set _ZN9rocsparseL29bsrmmnn_small_blockdim_kernelILj64ELj8ELj2Ell21rocsparse_complex_numIfES2_S2_S2_EEv20rocsparse_direction_T3_S4_llNS_24const_host_device_scalarIT7_EEPKT2_PKS4_PKT4_PKT5_llS7_PT6_ll16rocsparse_order_21rocsparse_index_base_b.uses_flat_scratch, 0
	.set _ZN9rocsparseL29bsrmmnn_small_blockdim_kernelILj64ELj8ELj2Ell21rocsparse_complex_numIfES2_S2_S2_EEv20rocsparse_direction_T3_S4_llNS_24const_host_device_scalarIT7_EEPKT2_PKS4_PKT4_PKT5_llS7_PT6_ll16rocsparse_order_21rocsparse_index_base_b.has_dyn_sized_stack, 0
	.set _ZN9rocsparseL29bsrmmnn_small_blockdim_kernelILj64ELj8ELj2Ell21rocsparse_complex_numIfES2_S2_S2_EEv20rocsparse_direction_T3_S4_llNS_24const_host_device_scalarIT7_EEPKT2_PKS4_PKT4_PKT5_llS7_PT6_ll16rocsparse_order_21rocsparse_index_base_b.has_recursion, 0
	.set _ZN9rocsparseL29bsrmmnn_small_blockdim_kernelILj64ELj8ELj2Ell21rocsparse_complex_numIfES2_S2_S2_EEv20rocsparse_direction_T3_S4_llNS_24const_host_device_scalarIT7_EEPKT2_PKS4_PKT4_PKT5_llS7_PT6_ll16rocsparse_order_21rocsparse_index_base_b.has_indirect_call, 0
	.section	.AMDGPU.csdata,"",@progbits
; Kernel info:
; codeLenInByte = 1880
; TotalNumSgprs: 32
; NumVgprs: 65
; ScratchSize: 0
; MemoryBound: 0
; FloatMode: 240
; IeeeMode: 1
; LDSByteSize: 2048 bytes/workgroup (compile time only)
; SGPRBlocks: 8
; VGPRBlocks: 16
; NumSGPRsForWavesPerEU: 65
; NumVGPRsForWavesPerEU: 65
; Occupancy: 3
; WaveLimiterHint : 1
; COMPUTE_PGM_RSRC2:SCRATCH_EN: 0
; COMPUTE_PGM_RSRC2:USER_SGPR: 6
; COMPUTE_PGM_RSRC2:TRAP_HANDLER: 0
; COMPUTE_PGM_RSRC2:TGID_X_EN: 1
; COMPUTE_PGM_RSRC2:TGID_Y_EN: 1
; COMPUTE_PGM_RSRC2:TGID_Z_EN: 0
; COMPUTE_PGM_RSRC2:TIDIG_COMP_CNT: 0
	.section	.text._ZN9rocsparseL29bsrmmnn_small_blockdim_kernelILj64ELj8ELj2Eii21rocsparse_complex_numIdES2_S2_S2_EEv20rocsparse_direction_T3_S4_llNS_24const_host_device_scalarIT7_EEPKT2_PKS4_PKT4_PKT5_llS7_PT6_ll16rocsparse_order_21rocsparse_index_base_b,"axG",@progbits,_ZN9rocsparseL29bsrmmnn_small_blockdim_kernelILj64ELj8ELj2Eii21rocsparse_complex_numIdES2_S2_S2_EEv20rocsparse_direction_T3_S4_llNS_24const_host_device_scalarIT7_EEPKT2_PKS4_PKT4_PKT5_llS7_PT6_ll16rocsparse_order_21rocsparse_index_base_b,comdat
	.globl	_ZN9rocsparseL29bsrmmnn_small_blockdim_kernelILj64ELj8ELj2Eii21rocsparse_complex_numIdES2_S2_S2_EEv20rocsparse_direction_T3_S4_llNS_24const_host_device_scalarIT7_EEPKT2_PKS4_PKT4_PKT5_llS7_PT6_ll16rocsparse_order_21rocsparse_index_base_b ; -- Begin function _ZN9rocsparseL29bsrmmnn_small_blockdim_kernelILj64ELj8ELj2Eii21rocsparse_complex_numIdES2_S2_S2_EEv20rocsparse_direction_T3_S4_llNS_24const_host_device_scalarIT7_EEPKT2_PKS4_PKT4_PKT5_llS7_PT6_ll16rocsparse_order_21rocsparse_index_base_b
	.p2align	8
	.type	_ZN9rocsparseL29bsrmmnn_small_blockdim_kernelILj64ELj8ELj2Eii21rocsparse_complex_numIdES2_S2_S2_EEv20rocsparse_direction_T3_S4_llNS_24const_host_device_scalarIT7_EEPKT2_PKS4_PKT4_PKT5_llS7_PT6_ll16rocsparse_order_21rocsparse_index_base_b,@function
_ZN9rocsparseL29bsrmmnn_small_blockdim_kernelILj64ELj8ELj2Eii21rocsparse_complex_numIdES2_S2_S2_EEv20rocsparse_direction_T3_S4_llNS_24const_host_device_scalarIT7_EEPKT2_PKS4_PKT4_PKT5_llS7_PT6_ll16rocsparse_order_21rocsparse_index_base_b: ; @_ZN9rocsparseL29bsrmmnn_small_blockdim_kernelILj64ELj8ELj2Eii21rocsparse_complex_numIdES2_S2_S2_EEv20rocsparse_direction_T3_S4_llNS_24const_host_device_scalarIT7_EEPKT2_PKS4_PKT4_PKT5_llS7_PT6_ll16rocsparse_order_21rocsparse_index_base_b
; %bb.0:
	s_load_dwordx2 s[0:1], s[4:5], 0x20
	s_load_dwordx4 s[16:19], s[4:5], 0x88
	s_add_u32 s8, s4, 32
	s_addc_u32 s9, s5, 0
	s_add_u32 s10, s4, 0x60
	s_addc_u32 s11, s5, 0
	s_waitcnt lgkmcnt(0)
	s_bitcmp1_b32 s18, 0
	s_cselect_b32 s1, s9, s1
	s_cselect_b32 s0, s8, s0
	v_mov_b32_e32 v1, s0
	v_mov_b32_e32 v2, s1
	flat_load_dwordx4 v[1:4], v[1:2]
	s_load_dwordx2 s[2:3], s[4:5], 0x60
	s_waitcnt lgkmcnt(0)
	s_cselect_b32 s0, s11, s3
	s_cselect_b32 s1, s10, s2
	v_mov_b32_e32 v5, s1
	v_mov_b32_e32 v6, s0
	flat_load_dwordx4 v[5:8], v[5:6]
	s_waitcnt vmcnt(0)
	v_cmp_eq_f64_e32 vcc, 0, v[1:2]
	v_cmp_eq_f64_e64 s[0:1], 0, v[3:4]
	s_and_b64 s[8:9], vcc, s[0:1]
	s_mov_b64 s[0:1], -1
	s_and_saveexec_b64 s[2:3], s[8:9]
	s_cbranch_execz .LBB9_2
; %bb.1:
	s_waitcnt lgkmcnt(0)
	v_cmp_neq_f64_e32 vcc, 1.0, v[5:6]
	v_cmp_neq_f64_e64 s[0:1], 0, v[7:8]
	s_or_b64 s[0:1], vcc, s[0:1]
	s_orn2_b64 s[0:1], s[0:1], exec
.LBB9_2:
	s_or_b64 exec, exec, s[2:3]
	s_and_saveexec_b64 s[2:3], s[0:1]
	s_cbranch_execz .LBB9_25
; %bb.3:
	s_load_dword s0, s[4:5], 0x98
	s_load_dwordx4 s[20:23], s[4:5], 0x0
	s_add_u32 s1, s4, 0x98
	s_addc_u32 s3, s5, 0
	v_mov_b32_e32 v18, 0
	s_waitcnt lgkmcnt(0)
	s_cmp_lt_u32 s6, s0
	s_cselect_b32 s2, 12, 18
	s_add_u32 s2, s1, s2
	s_addc_u32 s3, s3, 0
	global_load_ushort v10, v18, s[2:3]
	s_waitcnt vmcnt(0)
	v_mul_lo_u32 v9, s6, v10
	v_add_u32_e32 v9, v9, v0
	v_lshrrev_b32_e32 v19, 4, v9
	v_cmp_gt_i32_e32 vcc, s21, v19
	s_and_b64 exec, exec, vcc
	s_cbranch_execz .LBB9_25
; %bb.4:
	v_mul_lo_u32 v10, s0, v10
	s_load_dwordx4 s[24:27], s[4:5], 0x70
	s_load_dwordx2 s[0:1], s[4:5], 0x50
	v_and_b32_e32 v33, 7, v9
	v_lshrrev_b32_e32 v17, 3, v9
	v_bfe_u32 v15, v9, 3, 1
	v_lshl_or_b32 v9, s7, 3, v33
	v_lshrrev_b32_e32 v34, 4, v10
	v_ashrrev_i32_e32 v10, 31, v9
	s_waitcnt lgkmcnt(0)
	v_mul_lo_u32 v20, s0, v10
	v_mul_lo_u32 v21, s1, v9
	v_mad_u64_u32 v[13:14], s[0:1], s0, v9, 0
	v_lshlrev_b64 v[11:12], 4, v[9:10]
	s_load_dwordx8 s[8:15], s[4:5], 0x30
	v_mov_b32_e32 v16, s25
	v_add_co_u32_e32 v22, vcc, s24, v11
	v_add3_u32 v14, v14, v20, v21
	v_lshrrev_b32_e32 v11, 3, v0
	v_mov_b32_e32 v0, 0xc00
	v_addc_co_u32_e32 v16, vcc, v16, v12, vcc
	v_lshl_or_b32 v0, v11, 5, v0
	v_mul_u32_u24_e32 v36, 0x180, v11
	v_lshlrev_b64 v[11:12], 4, v[13:14]
	v_mad_u64_u32 v[13:14], s[6:7], s26, v17, 0
	v_cmp_neq_f64_e64 s[2:3], 0, v[5:6]
	v_cmp_neq_f64_e64 s[4:5], 0, v[7:8]
	s_waitcnt lgkmcnt(0)
	v_mov_b32_e32 v21, s15
	v_add_co_u32_e64 v37, s[6:7], s14, v11
	v_mov_b32_e32 v11, v14
	v_addc_co_u32_e64 v38, s[6:7], v21, v12, s[6:7]
	v_mad_u64_u32 v[11:12], s[14:15], s27, v17, v[11:12]
	s_cmp_eq_u32 s20, 0
	s_cselect_b64 vcc, -1, 0
	v_mov_b32_e32 v14, v11
	v_cmp_gt_i32_e64 s[0:1], s22, v9
	s_or_b64 s[4:5], s[2:3], s[4:5]
	v_lshlrev_b64 v[11:12], 4, v[13:14]
	v_mul_lo_u32 v13, s26, v10
	v_mul_lo_u32 v14, s27, v9
	v_mad_u64_u32 v[9:10], s[2:3], s26, v9, 0
	v_add_co_u32_e64 v21, s[2:3], v22, v11
	v_add3_u32 v10, v10, v13, v14
	v_lshlrev_b64 v[9:10], 4, v[9:10]
	v_addc_co_u32_e64 v22, s[2:3], v16, v12, s[2:3]
	v_mov_b32_e32 v11, s25
	v_add_co_u32_e64 v12, s[2:3], s24, v9
	v_addc_co_u32_e64 v11, s[2:3], v11, v10, s[2:3]
	v_lshlrev_b64 v[9:10], 4, v[17:18]
	v_lshlrev_b32_e32 v25, 1, v15
	v_or_b32_e32 v20, 2, v15
	v_mul_u32_u24_e32 v26, 48, v33
	v_or_b32_e32 v27, 1, v25
	s_cmp_lg_u32 s16, 1
	v_add_co_u32_e64 v23, s[2:3], v12, v9
	v_lshl_or_b32 v35, v33, 2, v0
	s_mov_b64 s[6:7], 0
	s_cselect_b64 s[14:15], -1, 0
	v_addc_co_u32_e64 v24, s[2:3], v11, v10, s[2:3]
	v_cndmask_b32_e32 v39, v15, v25, vcc
	v_cndmask_b32_e32 v40, v20, v27, vcc
	v_subrev_u32_e32 v41, s17, v33
	v_mov_b32_e32 v42, s9
	v_add_u32_e32 v43, v36, v26
	s_branch .LBB9_6
.LBB9_5:                                ;   in Loop: Header=BB9_6 Depth=1
	s_or_b64 exec, exec, s[2:3]
	v_add_u32_e32 v19, v19, v34
	v_cmp_le_i32_e32 vcc, s21, v19
	s_or_b64 s[6:7], vcc, s[6:7]
	s_andn2_b64 exec, exec, s[6:7]
	s_cbranch_execz .LBB9_25
.LBB9_6:                                ; =>This Loop Header: Depth=1
                                        ;     Child Loop BB9_9 Depth 2
	v_mov_b32_e32 v20, v18
	v_lshlrev_b64 v[9:10], 2, v[19:20]
	v_mov_b32_e32 v27, 0
	v_add_co_u32_e32 v9, vcc, s8, v9
	v_addc_co_u32_e32 v10, vcc, v42, v10, vcc
	global_load_dwordx2 v[9:10], v[9:10], off
	v_mov_b32_e32 v29, 0
	v_mov_b32_e32 v28, 0
	;; [unrolled: 1-line block ×3, first 2 shown]
	s_waitcnt vmcnt(0)
	v_cmp_lt_i32_e32 vcc, v9, v10
	s_and_saveexec_b64 s[2:3], vcc
	s_cbranch_execz .LBB9_14
; %bb.7:                                ;   in Loop: Header=BB9_6 Depth=1
	v_subrev_u32_e32 v44, s17, v9
	v_add_lshl_u32 v9, v41, v9, 2
	v_mov_b32_e32 v27, 0
	v_mov_b32_e32 v29, 0
	v_subrev_u32_e32 v20, s17, v10
	v_or_b32_e32 v25, v40, v9
	v_or_b32_e32 v17, v39, v9
	v_mov_b32_e32 v28, 0
	v_mov_b32_e32 v30, 0
	s_mov_b64 s[18:19], 0
	s_branch .LBB9_9
.LBB9_8:                                ;   in Loop: Header=BB9_9 Depth=2
	s_or_b64 exec, exec, s[22:23]
	v_add_u32_e32 v44, 8, v44
	v_cmp_ge_i32_e32 vcc, v44, v20
	v_add_u32_e32 v25, 32, v25
	s_or_b64 s[18:19], vcc, s[18:19]
	v_add_u32_e32 v17, 32, v17
	s_andn2_b64 exec, exec, s[18:19]
	s_cbranch_execz .LBB9_13
.LBB9_9:                                ;   Parent Loop BB9_6 Depth=1
                                        ; =>  This Inner Loop Header: Depth=2
	v_add_u32_e32 v31, v33, v44
	v_mov_b32_e32 v13, 0
	v_mov_b32_e32 v15, 0
	v_mov_b32_e32 v9, 0
	v_mov_b32_e32 v11, 0
	v_cmp_lt_i32_e32 vcc, v31, v20
	v_mov_b32_e32 v14, 0
	v_mov_b32_e32 v16, 0
	;; [unrolled: 1-line block ×5, first 2 shown]
	s_and_saveexec_b64 s[22:23], vcc
	s_cbranch_execz .LBB9_11
; %bb.10:                               ;   in Loop: Header=BB9_9 Depth=2
	v_ashrrev_i32_e32 v32, 31, v31
	v_lshlrev_b64 v[9:10], 2, v[31:32]
	v_mov_b32_e32 v11, s11
	v_add_co_u32_e32 v9, vcc, s10, v9
	v_addc_co_u32_e32 v10, vcc, v11, v10, vcc
	global_load_dword v47, v[9:10], off
	v_lshlrev_b64 v[9:10], 4, v[17:18]
	v_mov_b32_e32 v11, s13
	v_add_co_u32_e32 v31, vcc, s12, v9
	v_mov_b32_e32 v26, v18
	v_addc_co_u32_e32 v32, vcc, v11, v10, vcc
	v_lshlrev_b64 v[9:10], 4, v[25:26]
	v_add_co_u32_e32 v45, vcc, s12, v9
	v_addc_co_u32_e32 v46, vcc, v11, v10, vcc
	global_load_dwordx4 v[13:16], v[31:32], off
	global_load_dwordx4 v[9:12], v[45:46], off
	s_waitcnt vmcnt(2)
	v_subrev_u32_e32 v26, s17, v47
	v_lshlrev_b32_e32 v26, 1, v26
.LBB9_11:                               ;   in Loop: Header=BB9_9 Depth=2
	s_or_b64 exec, exec, s[22:23]
	ds_write_b32 v35, v26
	s_waitcnt vmcnt(1)
	ds_write_b128 v43, v[13:16]
	s_waitcnt vmcnt(0)
	ds_write_b128 v43, v[9:12] offset:16
	s_waitcnt lgkmcnt(0)
	; wave barrier
	s_and_saveexec_b64 s[22:23], s[0:1]
	s_cbranch_execz .LBB9_8
; %bb.12:                               ;   in Loop: Header=BB9_9 Depth=2
	ds_read_b128 v[9:12], v0
	s_waitcnt lgkmcnt(0)
	v_ashrrev_i32_e32 v14, 31, v9
	v_mov_b32_e32 v13, v9
	v_lshlrev_b64 v[13:14], 4, v[13:14]
	v_ashrrev_i32_e32 v62, 31, v12
	v_add_co_u32_e32 v31, vcc, v37, v13
	v_addc_co_u32_e32 v32, vcc, v38, v14, vcc
	global_load_dwordx4 v[13:16], v[31:32], off
	global_load_dwordx4 v[45:48], v[31:32], off offset:16
	v_ashrrev_i32_e32 v32, 31, v10
	v_mov_b32_e32 v31, v10
	v_lshlrev_b64 v[9:10], 4, v[31:32]
	v_mov_b32_e32 v61, v12
	v_add_co_u32_e32 v9, vcc, v37, v9
	v_addc_co_u32_e32 v10, vcc, v38, v10, vcc
	global_load_dwordx4 v[49:52], v[9:10], off
	global_load_dwordx4 v[53:56], v[9:10], off offset:16
	v_ashrrev_i32_e32 v10, 31, v11
	v_mov_b32_e32 v9, v11
	v_lshlrev_b64 v[9:10], 4, v[9:10]
	v_add_co_u32_e32 v31, vcc, v37, v9
	v_addc_co_u32_e32 v32, vcc, v38, v10, vcc
	global_load_dwordx4 v[57:60], v[31:32], off
	ds_read_b128 v[9:12], v36
	s_waitcnt vmcnt(4) lgkmcnt(0)
	v_fma_f64 v[29:30], v[9:10], v[13:14], v[29:30]
	v_fma_f64 v[13:14], v[11:12], v[13:14], v[27:28]
	v_fma_f64 v[26:27], -v[11:12], v[15:16], v[29:30]
	v_fma_f64 v[28:29], v[9:10], v[15:16], v[13:14]
	global_load_dwordx4 v[9:12], v[31:32], off offset:16
	ds_read_b128 v[13:16], v36 offset:16
	v_lshlrev_b64 v[30:31], 4, v[61:62]
	v_add_co_u32_e32 v30, vcc, v37, v30
	s_waitcnt vmcnt(4) lgkmcnt(0)
	v_fma_f64 v[26:27], v[13:14], v[45:46], v[26:27]
	v_fma_f64 v[28:29], v[15:16], v[45:46], v[28:29]
	v_addc_co_u32_e32 v31, vcc, v38, v31, vcc
	v_fma_f64 v[45:46], -v[15:16], v[47:48], v[26:27]
	v_fma_f64 v[47:48], v[13:14], v[47:48], v[28:29]
	global_load_dwordx4 v[13:16], v[30:31], off
	ds_read_b128 v[26:29], v36 offset:48
	s_waitcnt vmcnt(4) lgkmcnt(0)
	v_fma_f64 v[45:46], v[26:27], v[49:50], v[45:46]
	v_fma_f64 v[47:48], v[28:29], v[49:50], v[47:48]
	v_fma_f64 v[45:46], -v[28:29], v[51:52], v[45:46]
	v_fma_f64 v[47:48], v[26:27], v[51:52], v[47:48]
	ds_read_b128 v[26:29], v36 offset:64
	s_waitcnt vmcnt(3) lgkmcnt(0)
	v_fma_f64 v[49:50], v[26:27], v[53:54], v[45:46]
	v_fma_f64 v[51:52], v[28:29], v[53:54], v[47:48]
	ds_read_b128 v[45:48], v0 offset:16
	v_fma_f64 v[53:54], -v[28:29], v[55:56], v[49:50]
	v_fma_f64 v[55:56], v[26:27], v[55:56], v[51:52]
	global_load_dwordx4 v[26:29], v[30:31], off offset:16
	ds_read_b128 v[49:52], v36 offset:96
	s_waitcnt lgkmcnt(1)
	v_ashrrev_i32_e32 v31, 31, v45
	v_mov_b32_e32 v30, v45
	v_lshlrev_b64 v[30:31], 4, v[30:31]
	v_ashrrev_i32_e32 v32, 31, v46
	s_waitcnt vmcnt(3) lgkmcnt(0)
	v_fma_f64 v[53:54], v[49:50], v[57:58], v[53:54]
	v_fma_f64 v[55:56], v[51:52], v[57:58], v[55:56]
	v_add_co_u32_e32 v30, vcc, v37, v30
	v_addc_co_u32_e32 v31, vcc, v38, v31, vcc
	v_fma_f64 v[61:62], -v[51:52], v[59:60], v[53:54]
	v_fma_f64 v[63:64], v[49:50], v[59:60], v[55:56]
	global_load_dwordx4 v[49:52], v[30:31], off
	global_load_dwordx4 v[57:60], v[30:31], off offset:16
	ds_read_b128 v[53:56], v36 offset:112
	s_waitcnt vmcnt(4) lgkmcnt(0)
	v_fma_f64 v[30:31], v[53:54], v[9:10], v[61:62]
	v_fma_f64 v[9:10], v[55:56], v[9:10], v[63:64]
	v_ashrrev_i32_e32 v62, 31, v48
	v_mov_b32_e32 v61, v48
	v_fma_f64 v[30:31], -v[55:56], v[11:12], v[30:31]
	v_fma_f64 v[53:54], v[53:54], v[11:12], v[9:10]
	ds_read_b128 v[9:12], v36 offset:144
	s_waitcnt vmcnt(3) lgkmcnt(0)
	v_fma_f64 v[55:56], v[9:10], v[13:14], v[30:31]
	v_fma_f64 v[13:14], v[11:12], v[13:14], v[53:54]
	v_mov_b32_e32 v31, v46
	v_lshlrev_b64 v[30:31], 4, v[31:32]
	v_add_co_u32_e32 v30, vcc, v37, v30
	v_addc_co_u32_e32 v31, vcc, v38, v31, vcc
	v_fma_f64 v[53:54], -v[11:12], v[15:16], v[55:56]
	v_fma_f64 v[55:56], v[9:10], v[15:16], v[13:14]
	global_load_dwordx4 v[9:12], v[30:31], off
	v_ashrrev_i32_e32 v14, 31, v47
	v_mov_b32_e32 v13, v47
	v_lshlrev_b64 v[13:14], 4, v[13:14]
	ds_read_b128 v[45:48], v36 offset:160
	v_add_co_u32_e32 v63, vcc, v37, v13
	v_addc_co_u32_e32 v64, vcc, v38, v14, vcc
	global_load_dwordx4 v[13:16], v[30:31], off offset:16
	s_waitcnt vmcnt(4) lgkmcnt(0)
	v_fma_f64 v[30:31], v[45:46], v[26:27], v[53:54]
	v_fma_f64 v[26:27], v[47:48], v[26:27], v[55:56]
	v_lshlrev_b64 v[55:56], 4, v[61:62]
	v_fma_f64 v[30:31], -v[47:48], v[28:29], v[30:31]
	v_fma_f64 v[53:54], v[45:46], v[28:29], v[26:27]
	global_load_dwordx4 v[26:29], v[63:64], off
	ds_read_b128 v[45:48], v36 offset:192
	s_waitcnt vmcnt(4) lgkmcnt(0)
	v_fma_f64 v[30:31], v[45:46], v[49:50], v[30:31]
	v_fma_f64 v[49:50], v[47:48], v[49:50], v[53:54]
	v_fma_f64 v[30:31], -v[47:48], v[51:52], v[30:31]
	v_fma_f64 v[53:54], v[45:46], v[51:52], v[49:50]
	global_load_dwordx4 v[45:48], v[63:64], off offset:16
	ds_read_b128 v[49:52], v36 offset:208
	s_waitcnt vmcnt(4) lgkmcnt(0)
	v_fma_f64 v[30:31], v[49:50], v[57:58], v[30:31]
	v_fma_f64 v[53:54], v[51:52], v[57:58], v[53:54]
	v_add_co_u32_e32 v57, vcc, v37, v55
	v_addc_co_u32_e32 v58, vcc, v38, v56, vcc
	v_fma_f64 v[30:31], -v[51:52], v[59:60], v[30:31]
	v_fma_f64 v[61:62], v[49:50], v[59:60], v[53:54]
	global_load_dwordx4 v[49:52], v[57:58], off
	ds_read_b128 v[53:56], v36 offset:240
	global_load_dwordx4 v[57:60], v[57:58], off offset:16
	s_waitcnt vmcnt(5) lgkmcnt(0)
	v_fma_f64 v[30:31], v[53:54], v[9:10], v[30:31]
	v_fma_f64 v[9:10], v[55:56], v[9:10], v[61:62]
	v_fma_f64 v[30:31], -v[55:56], v[11:12], v[30:31]
	v_fma_f64 v[53:54], v[53:54], v[11:12], v[9:10]
	ds_read_b128 v[9:12], v36 offset:256
	s_waitcnt vmcnt(4) lgkmcnt(0)
	v_fma_f64 v[30:31], v[9:10], v[13:14], v[30:31]
	v_fma_f64 v[13:14], v[11:12], v[13:14], v[53:54]
	v_fma_f64 v[30:31], -v[11:12], v[15:16], v[30:31]
	v_fma_f64 v[13:14], v[9:10], v[15:16], v[13:14]
	ds_read_b128 v[9:12], v36 offset:288
	;; [unrolled: 6-line block ×5, first 2 shown]
	s_waitcnt vmcnt(0) lgkmcnt(0)
	v_fma_f64 v[15:16], v[9:10], v[57:58], v[15:16]
	v_fma_f64 v[13:14], v[11:12], v[57:58], v[13:14]
	v_fma_f64 v[29:30], -v[11:12], v[59:60], v[15:16]
	v_fma_f64 v[27:28], v[9:10], v[59:60], v[13:14]
	s_branch .LBB9_8
.LBB9_13:                               ;   in Loop: Header=BB9_6 Depth=1
	s_or_b64 exec, exec, s[18:19]
.LBB9_14:                               ;   in Loop: Header=BB9_6 Depth=1
	s_or_b64 exec, exec, s[2:3]
	s_and_saveexec_b64 s[2:3], s[0:1]
	s_cbranch_execz .LBB9_5
; %bb.15:                               ;   in Loop: Header=BB9_6 Depth=1
	v_mul_f64 v[9:10], v[27:28], -v[3:4]
	v_mul_f64 v[11:12], v[1:2], v[27:28]
	v_fma_f64 v[9:10], v[1:2], v[29:30], v[9:10]
	v_fma_f64 v[11:12], v[3:4], v[29:30], v[11:12]
	s_and_saveexec_b64 s[18:19], s[4:5]
	s_xor_b64 s[18:19], exec, s[18:19]
	s_cbranch_execz .LBB9_20
; %bb.16:                               ;   in Loop: Header=BB9_6 Depth=1
	s_mov_b64 s[22:23], -1
	s_and_b64 vcc, exec, s[14:15]
	s_cbranch_vccz .LBB9_18
; %bb.17:                               ;   in Loop: Header=BB9_6 Depth=1
	global_load_dwordx4 v[13:16], v[21:22], off
	s_mov_b64 s[22:23], 0
	s_waitcnt vmcnt(0)
	v_fma_f64 v[25:26], v[5:6], v[13:14], v[9:10]
	v_fma_f64 v[27:28], v[7:8], v[13:14], v[11:12]
	v_fma_f64 v[13:14], -v[7:8], v[15:16], v[25:26]
	v_fma_f64 v[15:16], v[5:6], v[15:16], v[27:28]
	global_store_dwordx4 v[21:22], v[13:16], off
.LBB9_18:                               ;   in Loop: Header=BB9_6 Depth=1
	s_andn2_b64 vcc, exec, s[22:23]
	s_cbranch_vccnz .LBB9_20
; %bb.19:                               ;   in Loop: Header=BB9_6 Depth=1
	global_load_dwordx4 v[13:16], v[23:24], off
	s_waitcnt vmcnt(0)
	v_fma_f64 v[9:10], v[5:6], v[13:14], v[9:10]
	v_fma_f64 v[11:12], v[7:8], v[13:14], v[11:12]
	v_fma_f64 v[9:10], -v[7:8], v[15:16], v[9:10]
	v_fma_f64 v[11:12], v[5:6], v[15:16], v[11:12]
	global_store_dwordx4 v[23:24], v[9:12], off
                                        ; implicit-def: $vgpr9_vgpr10
.LBB9_20:                               ;   in Loop: Header=BB9_6 Depth=1
	s_andn2_saveexec_b64 s[18:19], s[18:19]
	s_cbranch_execz .LBB9_5
; %bb.21:                               ;   in Loop: Header=BB9_6 Depth=1
	s_mov_b64 s[18:19], -1
	s_and_b64 vcc, exec, s[14:15]
	s_cbranch_vccz .LBB9_23
; %bb.22:                               ;   in Loop: Header=BB9_6 Depth=1
	global_store_dwordx4 v[21:22], v[9:12], off
	s_mov_b64 s[18:19], 0
.LBB9_23:                               ;   in Loop: Header=BB9_6 Depth=1
	s_andn2_b64 vcc, exec, s[18:19]
	s_cbranch_vccnz .LBB9_5
; %bb.24:                               ;   in Loop: Header=BB9_6 Depth=1
	global_store_dwordx4 v[23:24], v[9:12], off
	s_branch .LBB9_5
.LBB9_25:
	s_endpgm
	.section	.rodata,"a",@progbits
	.p2align	6, 0x0
	.amdhsa_kernel _ZN9rocsparseL29bsrmmnn_small_blockdim_kernelILj64ELj8ELj2Eii21rocsparse_complex_numIdES2_S2_S2_EEv20rocsparse_direction_T3_S4_llNS_24const_host_device_scalarIT7_EEPKT2_PKS4_PKT4_PKT5_llS7_PT6_ll16rocsparse_order_21rocsparse_index_base_b
		.amdhsa_group_segment_fixed_size 3328
		.amdhsa_private_segment_fixed_size 0
		.amdhsa_kernarg_size 408
		.amdhsa_user_sgpr_count 6
		.amdhsa_user_sgpr_private_segment_buffer 1
		.amdhsa_user_sgpr_dispatch_ptr 0
		.amdhsa_user_sgpr_queue_ptr 0
		.amdhsa_user_sgpr_kernarg_segment_ptr 1
		.amdhsa_user_sgpr_dispatch_id 0
		.amdhsa_user_sgpr_flat_scratch_init 0
		.amdhsa_user_sgpr_private_segment_size 0
		.amdhsa_uses_dynamic_stack 0
		.amdhsa_system_sgpr_private_segment_wavefront_offset 0
		.amdhsa_system_sgpr_workgroup_id_x 1
		.amdhsa_system_sgpr_workgroup_id_y 1
		.amdhsa_system_sgpr_workgroup_id_z 0
		.amdhsa_system_sgpr_workgroup_info 0
		.amdhsa_system_vgpr_workitem_id 0
		.amdhsa_next_free_vgpr 65
		.amdhsa_next_free_sgpr 98
		.amdhsa_reserve_vcc 1
		.amdhsa_reserve_flat_scratch 0
		.amdhsa_float_round_mode_32 0
		.amdhsa_float_round_mode_16_64 0
		.amdhsa_float_denorm_mode_32 3
		.amdhsa_float_denorm_mode_16_64 3
		.amdhsa_dx10_clamp 1
		.amdhsa_ieee_mode 1
		.amdhsa_fp16_overflow 0
		.amdhsa_exception_fp_ieee_invalid_op 0
		.amdhsa_exception_fp_denorm_src 0
		.amdhsa_exception_fp_ieee_div_zero 0
		.amdhsa_exception_fp_ieee_overflow 0
		.amdhsa_exception_fp_ieee_underflow 0
		.amdhsa_exception_fp_ieee_inexact 0
		.amdhsa_exception_int_div_zero 0
	.end_amdhsa_kernel
	.section	.text._ZN9rocsparseL29bsrmmnn_small_blockdim_kernelILj64ELj8ELj2Eii21rocsparse_complex_numIdES2_S2_S2_EEv20rocsparse_direction_T3_S4_llNS_24const_host_device_scalarIT7_EEPKT2_PKS4_PKT4_PKT5_llS7_PT6_ll16rocsparse_order_21rocsparse_index_base_b,"axG",@progbits,_ZN9rocsparseL29bsrmmnn_small_blockdim_kernelILj64ELj8ELj2Eii21rocsparse_complex_numIdES2_S2_S2_EEv20rocsparse_direction_T3_S4_llNS_24const_host_device_scalarIT7_EEPKT2_PKS4_PKT4_PKT5_llS7_PT6_ll16rocsparse_order_21rocsparse_index_base_b,comdat
.Lfunc_end9:
	.size	_ZN9rocsparseL29bsrmmnn_small_blockdim_kernelILj64ELj8ELj2Eii21rocsparse_complex_numIdES2_S2_S2_EEv20rocsparse_direction_T3_S4_llNS_24const_host_device_scalarIT7_EEPKT2_PKS4_PKT4_PKT5_llS7_PT6_ll16rocsparse_order_21rocsparse_index_base_b, .Lfunc_end9-_ZN9rocsparseL29bsrmmnn_small_blockdim_kernelILj64ELj8ELj2Eii21rocsparse_complex_numIdES2_S2_S2_EEv20rocsparse_direction_T3_S4_llNS_24const_host_device_scalarIT7_EEPKT2_PKS4_PKT4_PKT5_llS7_PT6_ll16rocsparse_order_21rocsparse_index_base_b
                                        ; -- End function
	.set _ZN9rocsparseL29bsrmmnn_small_blockdim_kernelILj64ELj8ELj2Eii21rocsparse_complex_numIdES2_S2_S2_EEv20rocsparse_direction_T3_S4_llNS_24const_host_device_scalarIT7_EEPKT2_PKS4_PKT4_PKT5_llS7_PT6_ll16rocsparse_order_21rocsparse_index_base_b.num_vgpr, 65
	.set _ZN9rocsparseL29bsrmmnn_small_blockdim_kernelILj64ELj8ELj2Eii21rocsparse_complex_numIdES2_S2_S2_EEv20rocsparse_direction_T3_S4_llNS_24const_host_device_scalarIT7_EEPKT2_PKS4_PKT4_PKT5_llS7_PT6_ll16rocsparse_order_21rocsparse_index_base_b.num_agpr, 0
	.set _ZN9rocsparseL29bsrmmnn_small_blockdim_kernelILj64ELj8ELj2Eii21rocsparse_complex_numIdES2_S2_S2_EEv20rocsparse_direction_T3_S4_llNS_24const_host_device_scalarIT7_EEPKT2_PKS4_PKT4_PKT5_llS7_PT6_ll16rocsparse_order_21rocsparse_index_base_b.numbered_sgpr, 28
	.set _ZN9rocsparseL29bsrmmnn_small_blockdim_kernelILj64ELj8ELj2Eii21rocsparse_complex_numIdES2_S2_S2_EEv20rocsparse_direction_T3_S4_llNS_24const_host_device_scalarIT7_EEPKT2_PKS4_PKT4_PKT5_llS7_PT6_ll16rocsparse_order_21rocsparse_index_base_b.num_named_barrier, 0
	.set _ZN9rocsparseL29bsrmmnn_small_blockdim_kernelILj64ELj8ELj2Eii21rocsparse_complex_numIdES2_S2_S2_EEv20rocsparse_direction_T3_S4_llNS_24const_host_device_scalarIT7_EEPKT2_PKS4_PKT4_PKT5_llS7_PT6_ll16rocsparse_order_21rocsparse_index_base_b.private_seg_size, 0
	.set _ZN9rocsparseL29bsrmmnn_small_blockdim_kernelILj64ELj8ELj2Eii21rocsparse_complex_numIdES2_S2_S2_EEv20rocsparse_direction_T3_S4_llNS_24const_host_device_scalarIT7_EEPKT2_PKS4_PKT4_PKT5_llS7_PT6_ll16rocsparse_order_21rocsparse_index_base_b.uses_vcc, 1
	.set _ZN9rocsparseL29bsrmmnn_small_blockdim_kernelILj64ELj8ELj2Eii21rocsparse_complex_numIdES2_S2_S2_EEv20rocsparse_direction_T3_S4_llNS_24const_host_device_scalarIT7_EEPKT2_PKS4_PKT4_PKT5_llS7_PT6_ll16rocsparse_order_21rocsparse_index_base_b.uses_flat_scratch, 0
	.set _ZN9rocsparseL29bsrmmnn_small_blockdim_kernelILj64ELj8ELj2Eii21rocsparse_complex_numIdES2_S2_S2_EEv20rocsparse_direction_T3_S4_llNS_24const_host_device_scalarIT7_EEPKT2_PKS4_PKT4_PKT5_llS7_PT6_ll16rocsparse_order_21rocsparse_index_base_b.has_dyn_sized_stack, 0
	.set _ZN9rocsparseL29bsrmmnn_small_blockdim_kernelILj64ELj8ELj2Eii21rocsparse_complex_numIdES2_S2_S2_EEv20rocsparse_direction_T3_S4_llNS_24const_host_device_scalarIT7_EEPKT2_PKS4_PKT4_PKT5_llS7_PT6_ll16rocsparse_order_21rocsparse_index_base_b.has_recursion, 0
	.set _ZN9rocsparseL29bsrmmnn_small_blockdim_kernelILj64ELj8ELj2Eii21rocsparse_complex_numIdES2_S2_S2_EEv20rocsparse_direction_T3_S4_llNS_24const_host_device_scalarIT7_EEPKT2_PKS4_PKT4_PKT5_llS7_PT6_ll16rocsparse_order_21rocsparse_index_base_b.has_indirect_call, 0
	.section	.AMDGPU.csdata,"",@progbits
; Kernel info:
; codeLenInByte = 2332
; TotalNumSgprs: 32
; NumVgprs: 65
; ScratchSize: 0
; MemoryBound: 1
; FloatMode: 240
; IeeeMode: 1
; LDSByteSize: 3328 bytes/workgroup (compile time only)
; SGPRBlocks: 12
; VGPRBlocks: 16
; NumSGPRsForWavesPerEU: 102
; NumVGPRsForWavesPerEU: 65
; Occupancy: 3
; WaveLimiterHint : 0
; COMPUTE_PGM_RSRC2:SCRATCH_EN: 0
; COMPUTE_PGM_RSRC2:USER_SGPR: 6
; COMPUTE_PGM_RSRC2:TRAP_HANDLER: 0
; COMPUTE_PGM_RSRC2:TGID_X_EN: 1
; COMPUTE_PGM_RSRC2:TGID_Y_EN: 1
; COMPUTE_PGM_RSRC2:TGID_Z_EN: 0
; COMPUTE_PGM_RSRC2:TIDIG_COMP_CNT: 0
	.section	.text._ZN9rocsparseL29bsrmmnn_small_blockdim_kernelILj64ELj8ELj2Eli21rocsparse_complex_numIdES2_S2_S2_EEv20rocsparse_direction_T3_S4_llNS_24const_host_device_scalarIT7_EEPKT2_PKS4_PKT4_PKT5_llS7_PT6_ll16rocsparse_order_21rocsparse_index_base_b,"axG",@progbits,_ZN9rocsparseL29bsrmmnn_small_blockdim_kernelILj64ELj8ELj2Eli21rocsparse_complex_numIdES2_S2_S2_EEv20rocsparse_direction_T3_S4_llNS_24const_host_device_scalarIT7_EEPKT2_PKS4_PKT4_PKT5_llS7_PT6_ll16rocsparse_order_21rocsparse_index_base_b,comdat
	.globl	_ZN9rocsparseL29bsrmmnn_small_blockdim_kernelILj64ELj8ELj2Eli21rocsparse_complex_numIdES2_S2_S2_EEv20rocsparse_direction_T3_S4_llNS_24const_host_device_scalarIT7_EEPKT2_PKS4_PKT4_PKT5_llS7_PT6_ll16rocsparse_order_21rocsparse_index_base_b ; -- Begin function _ZN9rocsparseL29bsrmmnn_small_blockdim_kernelILj64ELj8ELj2Eli21rocsparse_complex_numIdES2_S2_S2_EEv20rocsparse_direction_T3_S4_llNS_24const_host_device_scalarIT7_EEPKT2_PKS4_PKT4_PKT5_llS7_PT6_ll16rocsparse_order_21rocsparse_index_base_b
	.p2align	8
	.type	_ZN9rocsparseL29bsrmmnn_small_blockdim_kernelILj64ELj8ELj2Eli21rocsparse_complex_numIdES2_S2_S2_EEv20rocsparse_direction_T3_S4_llNS_24const_host_device_scalarIT7_EEPKT2_PKS4_PKT4_PKT5_llS7_PT6_ll16rocsparse_order_21rocsparse_index_base_b,@function
_ZN9rocsparseL29bsrmmnn_small_blockdim_kernelILj64ELj8ELj2Eli21rocsparse_complex_numIdES2_S2_S2_EEv20rocsparse_direction_T3_S4_llNS_24const_host_device_scalarIT7_EEPKT2_PKS4_PKT4_PKT5_llS7_PT6_ll16rocsparse_order_21rocsparse_index_base_b: ; @_ZN9rocsparseL29bsrmmnn_small_blockdim_kernelILj64ELj8ELj2Eli21rocsparse_complex_numIdES2_S2_S2_EEv20rocsparse_direction_T3_S4_llNS_24const_host_device_scalarIT7_EEPKT2_PKS4_PKT4_PKT5_llS7_PT6_ll16rocsparse_order_21rocsparse_index_base_b
; %bb.0:
	s_load_dwordx2 s[0:1], s[4:5], 0x20
	s_load_dwordx4 s[16:19], s[4:5], 0x88
	s_add_u32 s8, s4, 32
	s_addc_u32 s9, s5, 0
	s_add_u32 s10, s4, 0x60
	s_addc_u32 s11, s5, 0
	s_waitcnt lgkmcnt(0)
	s_bitcmp1_b32 s18, 0
	s_cselect_b32 s1, s9, s1
	s_cselect_b32 s0, s8, s0
	v_mov_b32_e32 v1, s0
	v_mov_b32_e32 v2, s1
	flat_load_dwordx4 v[1:4], v[1:2]
	s_load_dwordx2 s[2:3], s[4:5], 0x60
	s_waitcnt lgkmcnt(0)
	s_cselect_b32 s0, s11, s3
	s_cselect_b32 s1, s10, s2
	v_mov_b32_e32 v5, s1
	v_mov_b32_e32 v6, s0
	flat_load_dwordx4 v[5:8], v[5:6]
	s_waitcnt vmcnt(0)
	v_cmp_eq_f64_e32 vcc, 0, v[1:2]
	v_cmp_eq_f64_e64 s[0:1], 0, v[3:4]
	s_and_b64 s[8:9], vcc, s[0:1]
	s_mov_b64 s[0:1], -1
	s_and_saveexec_b64 s[2:3], s[8:9]
	s_cbranch_execz .LBB10_2
; %bb.1:
	s_waitcnt lgkmcnt(0)
	v_cmp_neq_f64_e32 vcc, 1.0, v[5:6]
	v_cmp_neq_f64_e64 s[0:1], 0, v[7:8]
	s_or_b64 s[0:1], vcc, s[0:1]
	s_orn2_b64 s[0:1], s[0:1], exec
.LBB10_2:
	s_or_b64 exec, exec, s[2:3]
	s_and_saveexec_b64 s[2:3], s[0:1]
	s_cbranch_execz .LBB10_25
; %bb.3:
	s_load_dword s0, s[4:5], 0x98
	s_load_dwordx4 s[20:23], s[4:5], 0x0
	s_add_u32 s1, s4, 0x98
	s_addc_u32 s3, s5, 0
	v_mov_b32_e32 v18, 0
	s_waitcnt lgkmcnt(0)
	s_cmp_lt_u32 s6, s0
	s_cselect_b32 s2, 12, 18
	s_add_u32 s2, s1, s2
	s_addc_u32 s3, s3, 0
	global_load_ushort v10, v18, s[2:3]
	s_waitcnt vmcnt(0)
	v_mul_lo_u32 v9, s6, v10
	v_add_u32_e32 v9, v9, v0
	v_lshrrev_b32_e32 v17, 4, v9
	v_cmp_gt_i32_e32 vcc, s21, v17
	s_and_b64 exec, exec, vcc
	s_cbranch_execz .LBB10_25
; %bb.4:
	v_mul_lo_u32 v10, s0, v10
	v_and_b32_e32 v36, 7, v9
	s_load_dwordx8 s[8:15], s[4:5], 0x30
	s_load_dwordx4 s[24:27], s[4:5], 0x70
	s_load_dwordx2 s[0:1], s[4:5], 0x50
	v_bfe_u32 v23, v9, 3, 1
	v_lshrrev_b32_e32 v35, 4, v10
	v_lshl_or_b32 v10, s7, 3, v36
	v_ashrrev_i32_e32 v11, 31, v10
	v_lshlrev_b64 v[12:13], 4, v[10:11]
	s_waitcnt lgkmcnt(0)
	v_mov_b32_e32 v14, s25
	v_add_co_u32_e32 v21, vcc, s24, v12
	v_addc_co_u32_e32 v22, vcc, v14, v13, vcc
	v_mul_lo_u32 v15, s0, v11
	v_mul_lo_u32 v16, s1, v10
	v_mad_u64_u32 v[13:14], s[0:1], s0, v10, 0
	v_cmp_neq_f64_e32 vcc, 0, v[5:6]
	v_cmp_neq_f64_e64 s[0:1], 0, v[7:8]
	v_lshrrev_b32_e32 v12, 3, v9
	v_add3_u32 v14, v14, v15, v16
	v_lshrrev_b32_e32 v9, 3, v0
	v_mov_b32_e32 v0, 0xc00
	v_lshl_or_b32 v0, v9, 5, v0
	v_mul_u32_u24_e32 v38, 0x180, v9
	v_lshlrev_b64 v[13:14], 4, v[13:14]
	s_or_b64 s[6:7], vcc, s[0:1]
	v_mad_u64_u32 v[15:16], s[0:1], s26, v12, 0
	v_mov_b32_e32 v25, s15
	v_add_co_u32_e32 v39, vcc, s14, v13
	v_mov_b32_e32 v9, v16
	v_mad_u64_u32 v[19:20], s[2:3], s27, v12, v[9:10]
	v_cmp_gt_i32_e64 s[0:1], s22, v10
	v_addc_co_u32_e32 v40, vcc, v25, v14, vcc
	v_mov_b32_e32 v16, v19
	v_lshlrev_b64 v[14:15], 4, v[15:16]
	v_mul_lo_u32 v11, s26, v11
	v_mul_lo_u32 v16, s27, v10
	v_mad_u64_u32 v[9:10], s[2:3], s26, v10, 0
	v_add_co_u32_e32 v19, vcc, v21, v14
	v_add3_u32 v10, v10, v11, v16
	v_lshlrev_b64 v[9:10], 4, v[9:10]
	v_addc_co_u32_e32 v20, vcc, v22, v15, vcc
	s_cmp_lg_u32 s16, 1
	v_mov_b32_e32 v13, v18
	v_mov_b32_e32 v11, s25
	v_add_co_u32_e32 v14, vcc, s24, v9
	s_cselect_b64 s[18:19], -1, 0
	s_cmp_eq_u32 s20, 0
	v_addc_co_u32_e32 v11, vcc, v11, v10, vcc
	v_lshlrev_b64 v[9:10], 4, v[12:13]
	s_cselect_b64 s[2:3], -1, 0
	v_add_co_u32_e32 v21, vcc, v14, v9
	v_cndmask_b32_e64 v9, 0, 1, s[2:3]
	v_addc_co_u32_e32 v22, vcc, v11, v10, vcc
	v_lshlrev_b32_e32 v9, v9, v23
	v_subrev_co_u32_e32 v41, vcc, s17, v36
	v_lshlrev_b32_e32 v9, 4, v9
	v_mul_u32_u24_e32 v24, 48, v36
	s_and_b64 s[2:3], s[2:3], exec
	v_subb_co_u32_e64 v42, s[2:3], 0, 0, vcc
	v_mov_b32_e32 v10, s13
	v_add_co_u32_e32 v43, vcc, s12, v9
	s_mov_b32 s23, s17
	v_lshl_or_b32 v37, v36, 2, v0
	s_mov_b64 s[4:5], 0
	s_cselect_b32 s16, 16, 32
	s_cselect_b32 s20, 24, 40
	v_addc_co_u32_e32 v44, vcc, 0, v10, vcc
	v_add_u32_e32 v45, v38, v24
	v_mov_b32_e32 v46, s9
	s_branch .LBB10_6
.LBB10_5:                               ;   in Loop: Header=BB10_6 Depth=1
	s_or_b64 exec, exec, s[2:3]
	v_add_u32_e32 v17, v17, v35
	v_cmp_le_i32_e32 vcc, s21, v17
	s_or_b64 s[4:5], vcc, s[4:5]
	s_andn2_b64 exec, exec, s[4:5]
	s_cbranch_execz .LBB10_25
.LBB10_6:                               ; =>This Loop Header: Depth=1
                                        ;     Child Loop BB10_9 Depth 2
	v_lshlrev_b64 v[9:10], 3, v[17:18]
	v_mov_b32_e32 v31, 0
	v_add_co_u32_e32 v9, vcc, s8, v9
	v_addc_co_u32_e32 v10, vcc, v46, v10, vcc
	global_load_dwordx4 v[9:12], v[9:10], off
	v_mov_b32_e32 v33, 0
	v_mov_b32_e32 v32, 0
	;; [unrolled: 1-line block ×3, first 2 shown]
	s_waitcnt vmcnt(0)
	v_cmp_lt_i64_e32 vcc, v[9:10], v[11:12]
	s_and_saveexec_b64 s[12:13], vcc
	s_cbranch_execz .LBB10_14
; %bb.7:                                ;   in Loop: Header=BB10_6 Depth=1
	v_subrev_co_u32_e32 v23, vcc, s23, v11
	v_subbrev_co_u32_e32 v24, vcc, 0, v12, vcc
	v_subrev_co_u32_e32 v25, vcc, s23, v9
	v_subbrev_co_u32_e32 v26, vcc, 0, v10, vcc
	v_add_co_u32_e32 v9, vcc, v41, v9
	v_addc_co_u32_e32 v10, vcc, v42, v10, vcc
	v_lshlrev_b64 v[11:12], 2, v[9:10]
	v_mov_b32_e32 v13, s11
	v_add_co_u32_e32 v27, vcc, s10, v11
	v_lshlrev_b64 v[9:10], 6, v[9:10]
	v_addc_co_u32_e32 v28, vcc, v13, v12, vcc
	v_add_co_u32_e32 v29, vcc, v43, v9
	v_mov_b32_e32 v31, 0
	v_mov_b32_e32 v33, 0
	v_addc_co_u32_e32 v30, vcc, v44, v10, vcc
	v_mov_b32_e32 v32, 0
	v_mov_b32_e32 v34, 0
	s_mov_b64 s[14:15], 0
	s_branch .LBB10_9
.LBB10_8:                               ;   in Loop: Header=BB10_9 Depth=2
	s_or_b64 exec, exec, s[2:3]
	v_add_co_u32_e32 v25, vcc, 8, v25
	v_addc_co_u32_e32 v26, vcc, 0, v26, vcc
	v_add_co_u32_e32 v27, vcc, 32, v27
	v_addc_co_u32_e32 v28, vcc, 0, v28, vcc
	v_cmp_ge_i64_e64 s[2:3], v[25:26], v[23:24]
	v_add_co_u32_e32 v29, vcc, 0x200, v29
	s_or_b64 s[14:15], s[2:3], s[14:15]
	v_addc_co_u32_e32 v30, vcc, 0, v30, vcc
	s_andn2_b64 exec, exec, s[14:15]
	s_cbranch_execz .LBB10_13
.LBB10_9:                               ;   Parent Loop BB10_6 Depth=1
                                        ; =>  This Inner Loop Header: Depth=2
	v_add_co_u32_e32 v9, vcc, v36, v25
	v_addc_co_u32_e32 v10, vcc, 0, v26, vcc
	v_cmp_lt_i64_e32 vcc, v[9:10], v[23:24]
	v_mov_b32_e32 v9, 0
	v_mov_b32_e32 v11, 0
	;; [unrolled: 1-line block ×9, first 2 shown]
	s_and_saveexec_b64 s[2:3], vcc
	s_cbranch_execz .LBB10_11
; %bb.10:                               ;   in Loop: Header=BB10_9 Depth=2
	v_add_co_u32_e32 v47, vcc, s16, v29
	v_addc_co_u32_e32 v48, vcc, 0, v30, vcc
	global_load_dword v51, v[27:28], off
	global_load_dwordx4 v[9:12], v[29:30], off
	v_add_co_u32_e32 v49, vcc, s20, v29
	v_addc_co_u32_e32 v50, vcc, 0, v30, vcc
	global_load_dwordx2 v[13:14], v[47:48], off
	global_load_dwordx2 v[15:16], v[49:50], off
	s_waitcnt vmcnt(3)
	v_subrev_u32_e32 v47, s17, v51
	v_lshlrev_b32_e32 v47, 1, v47
.LBB10_11:                              ;   in Loop: Header=BB10_9 Depth=2
	s_or_b64 exec, exec, s[2:3]
	ds_write_b32 v37, v47
	s_waitcnt vmcnt(2)
	ds_write_b128 v45, v[9:12]
	s_waitcnt vmcnt(0)
	ds_write_b128 v45, v[13:16] offset:16
	s_waitcnt lgkmcnt(0)
	; wave barrier
	s_and_saveexec_b64 s[2:3], s[0:1]
	s_cbranch_execz .LBB10_8
; %bb.12:                               ;   in Loop: Header=BB10_9 Depth=2
	ds_read_b128 v[9:12], v0
	ds_read_b128 v[13:16], v0 offset:16
	s_waitcnt lgkmcnt(1)
	v_ashrrev_i32_e32 v48, 31, v9
	v_mov_b32_e32 v47, v9
	v_lshlrev_b64 v[47:48], 4, v[47:48]
	v_add_co_u32_e32 v55, vcc, v39, v47
	v_addc_co_u32_e32 v56, vcc, v40, v48, vcc
	global_load_dwordx4 v[47:50], v[55:56], off
	global_load_dwordx4 v[51:54], v[55:56], off offset:16
	v_ashrrev_i32_e32 v56, 31, v10
	v_mov_b32_e32 v55, v10
	v_lshlrev_b64 v[9:10], 4, v[55:56]
	v_add_co_u32_e32 v9, vcc, v39, v9
	v_addc_co_u32_e32 v10, vcc, v40, v10, vcc
	global_load_dwordx4 v[55:58], v[9:10], off
	global_load_dwordx4 v[59:62], v[9:10], off offset:16
	v_ashrrev_i32_e32 v10, 31, v11
	v_mov_b32_e32 v9, v11
	v_lshlrev_b64 v[9:10], 4, v[9:10]
	ds_read_b128 v[67:70], v38
	ds_read_b128 v[75:78], v38 offset:16
	v_add_co_u32_e32 v9, vcc, v39, v9
	v_addc_co_u32_e32 v10, vcc, v40, v10, vcc
	global_load_dwordx4 v[63:66], v[9:10], off
	global_load_dwordx4 v[71:74], v[9:10], off offset:16
	s_waitcnt vmcnt(5) lgkmcnt(1)
	v_fma_f64 v[9:10], v[67:68], v[47:48], v[33:34]
	v_fma_f64 v[31:32], v[69:70], v[47:48], v[31:32]
	v_ashrrev_i32_e32 v34, 31, v12
	v_mov_b32_e32 v33, v12
	v_fma_f64 v[47:48], -v[69:70], v[49:50], v[9:10]
	v_fma_f64 v[31:32], v[67:68], v[49:50], v[31:32]
	v_lshlrev_b64 v[9:10], 4, v[33:34]
	v_add_co_u32_e32 v49, vcc, v39, v9
	v_addc_co_u32_e32 v50, vcc, v40, v10, vcc
	s_waitcnt vmcnt(4) lgkmcnt(0)
	v_fma_f64 v[33:34], v[75:76], v[51:52], v[47:48]
	v_fma_f64 v[31:32], v[77:78], v[51:52], v[31:32]
	global_load_dwordx4 v[9:12], v[49:50], off
	v_fma_f64 v[67:68], -v[77:78], v[53:54], v[33:34]
	v_fma_f64 v[69:70], v[75:76], v[53:54], v[31:32]
	ds_read_b128 v[31:34], v38 offset:48
	ds_read_b128 v[51:54], v38 offset:64
	s_waitcnt vmcnt(4) lgkmcnt(1)
	v_fma_f64 v[67:68], v[31:32], v[55:56], v[67:68]
	v_fma_f64 v[55:56], v[33:34], v[55:56], v[69:70]
	v_ashrrev_i32_e32 v70, 31, v13
	v_mov_b32_e32 v69, v13
	v_fma_f64 v[67:68], -v[33:34], v[57:58], v[67:68]
	v_fma_f64 v[55:56], v[31:32], v[57:58], v[55:56]
	v_lshlrev_b64 v[31:32], 4, v[69:70]
	v_add_co_u32_e32 v57, vcc, v39, v31
	v_addc_co_u32_e32 v58, vcc, v40, v32, vcc
	global_load_dwordx4 v[31:34], v[57:58], off
	s_waitcnt vmcnt(4) lgkmcnt(0)
	v_fma_f64 v[67:68], v[51:52], v[59:60], v[67:68]
	global_load_dwordx4 v[47:50], v[49:50], off offset:16
	v_fma_f64 v[55:56], v[53:54], v[59:60], v[55:56]
	v_fma_f64 v[67:68], -v[53:54], v[61:62], v[67:68]
	v_fma_f64 v[69:70], v[51:52], v[61:62], v[55:56]
	ds_read_b128 v[51:54], v38 offset:96
	ds_read_b128 v[59:62], v38 offset:112
	global_load_dwordx4 v[55:58], v[57:58], off offset:16
	s_waitcnt vmcnt(5) lgkmcnt(1)
	v_fma_f64 v[67:68], v[51:52], v[63:64], v[67:68]
	v_fma_f64 v[63:64], v[53:54], v[63:64], v[69:70]
	v_ashrrev_i32_e32 v70, 31, v14
	v_mov_b32_e32 v69, v14
	v_fma_f64 v[13:14], -v[53:54], v[65:66], v[67:68]
	v_fma_f64 v[63:64], v[51:52], v[65:66], v[63:64]
	v_lshlrev_b64 v[51:52], 4, v[69:70]
	ds_read_b128 v[67:70], v38 offset:160
	v_add_co_u32_e32 v65, vcc, v39, v51
	v_addc_co_u32_e32 v66, vcc, v40, v52, vcc
	s_waitcnt vmcnt(4) lgkmcnt(1)
	v_fma_f64 v[13:14], v[59:60], v[71:72], v[13:14]
	v_fma_f64 v[63:64], v[61:62], v[71:72], v[63:64]
	global_load_dwordx4 v[51:54], v[65:66], off
	v_fma_f64 v[13:14], -v[61:62], v[73:74], v[13:14]
	v_fma_f64 v[71:72], v[59:60], v[73:74], v[63:64]
	ds_read_b128 v[59:62], v38 offset:144
	global_load_dwordx4 v[63:66], v[65:66], off offset:16
	s_waitcnt vmcnt(5) lgkmcnt(0)
	v_fma_f64 v[13:14], v[59:60], v[9:10], v[13:14]
	v_fma_f64 v[9:10], v[61:62], v[9:10], v[71:72]
	v_ashrrev_i32_e32 v72, 31, v15
	v_mov_b32_e32 v71, v15
	v_fma_f64 v[13:14], -v[61:62], v[11:12], v[13:14]
	v_fma_f64 v[59:60], v[59:60], v[11:12], v[9:10]
	v_lshlrev_b64 v[9:10], 4, v[71:72]
	v_add_co_u32_e32 v61, vcc, v39, v9
	v_addc_co_u32_e32 v62, vcc, v40, v10, vcc
	global_load_dwordx4 v[9:12], v[61:62], off
	s_waitcnt vmcnt(4)
	v_fma_f64 v[13:14], v[67:68], v[47:48], v[13:14]
	v_fma_f64 v[47:48], v[69:70], v[47:48], v[59:60]
	v_fma_f64 v[13:14], -v[69:70], v[49:50], v[13:14]
	v_fma_f64 v[71:72], v[67:68], v[49:50], v[47:48]
	ds_read_b128 v[47:50], v38 offset:192
	ds_read_b128 v[67:70], v38 offset:208
	s_waitcnt lgkmcnt(1)
	v_fma_f64 v[13:14], v[47:48], v[31:32], v[13:14]
	v_fma_f64 v[31:32], v[49:50], v[31:32], v[71:72]
	v_ashrrev_i32_e32 v72, 31, v16
	v_mov_b32_e32 v71, v16
	v_fma_f64 v[49:50], -v[49:50], v[33:34], v[13:14]
	v_lshlrev_b64 v[13:14], 4, v[71:72]
	v_fma_f64 v[31:32], v[47:48], v[33:34], v[31:32]
	v_add_co_u32_e32 v47, vcc, v39, v13
	v_addc_co_u32_e32 v48, vcc, v40, v14, vcc
	global_load_dwordx4 v[13:16], v[47:48], off
	s_waitcnt vmcnt(4) lgkmcnt(0)
	v_fma_f64 v[33:34], v[67:68], v[55:56], v[49:50]
	global_load_dwordx4 v[47:50], v[47:48], off offset:16
	v_fma_f64 v[31:32], v[69:70], v[55:56], v[31:32]
	global_load_dwordx4 v[59:62], v[61:62], off offset:16
	v_fma_f64 v[69:70], -v[69:70], v[57:58], v[33:34]
	v_fma_f64 v[67:68], v[67:68], v[57:58], v[31:32]
	ds_read_b128 v[31:34], v38 offset:240
	ds_read_b128 v[55:58], v38 offset:256
	s_waitcnt vmcnt(5) lgkmcnt(1)
	v_fma_f64 v[69:70], v[31:32], v[51:52], v[69:70]
	v_fma_f64 v[51:52], v[33:34], v[51:52], v[67:68]
	v_fma_f64 v[33:34], -v[33:34], v[53:54], v[69:70]
	v_fma_f64 v[31:32], v[31:32], v[53:54], v[51:52]
	s_waitcnt vmcnt(4) lgkmcnt(0)
	v_fma_f64 v[33:34], v[55:56], v[63:64], v[33:34]
	v_fma_f64 v[31:32], v[57:58], v[63:64], v[31:32]
	v_fma_f64 v[57:58], -v[57:58], v[65:66], v[33:34]
	v_fma_f64 v[55:56], v[55:56], v[65:66], v[31:32]
	ds_read_b128 v[31:34], v38 offset:288
	ds_read_b128 v[51:54], v38 offset:304
	s_waitcnt vmcnt(3) lgkmcnt(1)
	v_fma_f64 v[57:58], v[31:32], v[9:10], v[57:58]
	v_fma_f64 v[9:10], v[33:34], v[9:10], v[55:56]
	v_fma_f64 v[33:34], -v[33:34], v[11:12], v[57:58]
	v_fma_f64 v[9:10], v[31:32], v[11:12], v[9:10]
	s_waitcnt vmcnt(0) lgkmcnt(0)
	v_fma_f64 v[11:12], v[51:52], v[59:60], v[33:34]
	v_fma_f64 v[9:10], v[53:54], v[59:60], v[9:10]
	v_fma_f64 v[53:54], -v[53:54], v[61:62], v[11:12]
	v_fma_f64 v[51:52], v[51:52], v[61:62], v[9:10]
	ds_read_b128 v[9:12], v38 offset:336
	ds_read_b128 v[31:34], v38 offset:352
	s_waitcnt lgkmcnt(1)
	v_fma_f64 v[53:54], v[9:10], v[13:14], v[53:54]
	v_fma_f64 v[13:14], v[11:12], v[13:14], v[51:52]
	v_fma_f64 v[11:12], -v[11:12], v[15:16], v[53:54]
	v_fma_f64 v[9:10], v[9:10], v[15:16], v[13:14]
	s_waitcnt lgkmcnt(0)
	v_fma_f64 v[11:12], v[31:32], v[47:48], v[11:12]
	v_fma_f64 v[9:10], v[33:34], v[47:48], v[9:10]
	v_fma_f64 v[33:34], -v[33:34], v[49:50], v[11:12]
	v_fma_f64 v[31:32], v[31:32], v[49:50], v[9:10]
	s_branch .LBB10_8
.LBB10_13:                              ;   in Loop: Header=BB10_6 Depth=1
	s_or_b64 exec, exec, s[14:15]
.LBB10_14:                              ;   in Loop: Header=BB10_6 Depth=1
	s_or_b64 exec, exec, s[12:13]
	s_and_saveexec_b64 s[2:3], s[0:1]
	s_cbranch_execz .LBB10_5
; %bb.15:                               ;   in Loop: Header=BB10_6 Depth=1
	v_mul_f64 v[9:10], v[31:32], -v[3:4]
	v_mul_f64 v[11:12], v[1:2], v[31:32]
	v_fma_f64 v[9:10], v[1:2], v[33:34], v[9:10]
	v_fma_f64 v[11:12], v[3:4], v[33:34], v[11:12]
	s_and_saveexec_b64 s[12:13], s[6:7]
	s_xor_b64 s[12:13], exec, s[12:13]
	s_cbranch_execz .LBB10_20
; %bb.16:                               ;   in Loop: Header=BB10_6 Depth=1
	s_mov_b64 s[14:15], -1
	s_and_b64 vcc, exec, s[18:19]
	s_cbranch_vccz .LBB10_18
; %bb.17:                               ;   in Loop: Header=BB10_6 Depth=1
	global_load_dwordx4 v[13:16], v[19:20], off
	s_mov_b64 s[14:15], 0
	s_waitcnt vmcnt(0)
	v_fma_f64 v[23:24], v[5:6], v[13:14], v[9:10]
	v_fma_f64 v[25:26], v[7:8], v[13:14], v[11:12]
	v_fma_f64 v[13:14], -v[7:8], v[15:16], v[23:24]
	v_fma_f64 v[15:16], v[5:6], v[15:16], v[25:26]
	global_store_dwordx4 v[19:20], v[13:16], off
.LBB10_18:                              ;   in Loop: Header=BB10_6 Depth=1
	s_andn2_b64 vcc, exec, s[14:15]
	s_cbranch_vccnz .LBB10_20
; %bb.19:                               ;   in Loop: Header=BB10_6 Depth=1
	global_load_dwordx4 v[13:16], v[21:22], off
	s_waitcnt vmcnt(0)
	v_fma_f64 v[9:10], v[5:6], v[13:14], v[9:10]
	v_fma_f64 v[11:12], v[7:8], v[13:14], v[11:12]
	v_fma_f64 v[9:10], -v[7:8], v[15:16], v[9:10]
	v_fma_f64 v[11:12], v[5:6], v[15:16], v[11:12]
	global_store_dwordx4 v[21:22], v[9:12], off
                                        ; implicit-def: $vgpr9_vgpr10
.LBB10_20:                              ;   in Loop: Header=BB10_6 Depth=1
	s_andn2_saveexec_b64 s[12:13], s[12:13]
	s_cbranch_execz .LBB10_5
; %bb.21:                               ;   in Loop: Header=BB10_6 Depth=1
	s_mov_b64 s[12:13], -1
	s_and_b64 vcc, exec, s[18:19]
	s_cbranch_vccz .LBB10_23
; %bb.22:                               ;   in Loop: Header=BB10_6 Depth=1
	global_store_dwordx4 v[19:20], v[9:12], off
	s_mov_b64 s[12:13], 0
.LBB10_23:                              ;   in Loop: Header=BB10_6 Depth=1
	s_andn2_b64 vcc, exec, s[12:13]
	s_cbranch_vccnz .LBB10_5
; %bb.24:                               ;   in Loop: Header=BB10_6 Depth=1
	global_store_dwordx4 v[21:22], v[9:12], off
	s_branch .LBB10_5
.LBB10_25:
	s_endpgm
	.section	.rodata,"a",@progbits
	.p2align	6, 0x0
	.amdhsa_kernel _ZN9rocsparseL29bsrmmnn_small_blockdim_kernelILj64ELj8ELj2Eli21rocsparse_complex_numIdES2_S2_S2_EEv20rocsparse_direction_T3_S4_llNS_24const_host_device_scalarIT7_EEPKT2_PKS4_PKT4_PKT5_llS7_PT6_ll16rocsparse_order_21rocsparse_index_base_b
		.amdhsa_group_segment_fixed_size 3328
		.amdhsa_private_segment_fixed_size 0
		.amdhsa_kernarg_size 408
		.amdhsa_user_sgpr_count 6
		.amdhsa_user_sgpr_private_segment_buffer 1
		.amdhsa_user_sgpr_dispatch_ptr 0
		.amdhsa_user_sgpr_queue_ptr 0
		.amdhsa_user_sgpr_kernarg_segment_ptr 1
		.amdhsa_user_sgpr_dispatch_id 0
		.amdhsa_user_sgpr_flat_scratch_init 0
		.amdhsa_user_sgpr_private_segment_size 0
		.amdhsa_uses_dynamic_stack 0
		.amdhsa_system_sgpr_private_segment_wavefront_offset 0
		.amdhsa_system_sgpr_workgroup_id_x 1
		.amdhsa_system_sgpr_workgroup_id_y 1
		.amdhsa_system_sgpr_workgroup_id_z 0
		.amdhsa_system_sgpr_workgroup_info 0
		.amdhsa_system_vgpr_workitem_id 0
		.amdhsa_next_free_vgpr 79
		.amdhsa_next_free_sgpr 98
		.amdhsa_reserve_vcc 1
		.amdhsa_reserve_flat_scratch 0
		.amdhsa_float_round_mode_32 0
		.amdhsa_float_round_mode_16_64 0
		.amdhsa_float_denorm_mode_32 3
		.amdhsa_float_denorm_mode_16_64 3
		.amdhsa_dx10_clamp 1
		.amdhsa_ieee_mode 1
		.amdhsa_fp16_overflow 0
		.amdhsa_exception_fp_ieee_invalid_op 0
		.amdhsa_exception_fp_denorm_src 0
		.amdhsa_exception_fp_ieee_div_zero 0
		.amdhsa_exception_fp_ieee_overflow 0
		.amdhsa_exception_fp_ieee_underflow 0
		.amdhsa_exception_fp_ieee_inexact 0
		.amdhsa_exception_int_div_zero 0
	.end_amdhsa_kernel
	.section	.text._ZN9rocsparseL29bsrmmnn_small_blockdim_kernelILj64ELj8ELj2Eli21rocsparse_complex_numIdES2_S2_S2_EEv20rocsparse_direction_T3_S4_llNS_24const_host_device_scalarIT7_EEPKT2_PKS4_PKT4_PKT5_llS7_PT6_ll16rocsparse_order_21rocsparse_index_base_b,"axG",@progbits,_ZN9rocsparseL29bsrmmnn_small_blockdim_kernelILj64ELj8ELj2Eli21rocsparse_complex_numIdES2_S2_S2_EEv20rocsparse_direction_T3_S4_llNS_24const_host_device_scalarIT7_EEPKT2_PKS4_PKT4_PKT5_llS7_PT6_ll16rocsparse_order_21rocsparse_index_base_b,comdat
.Lfunc_end10:
	.size	_ZN9rocsparseL29bsrmmnn_small_blockdim_kernelILj64ELj8ELj2Eli21rocsparse_complex_numIdES2_S2_S2_EEv20rocsparse_direction_T3_S4_llNS_24const_host_device_scalarIT7_EEPKT2_PKS4_PKT4_PKT5_llS7_PT6_ll16rocsparse_order_21rocsparse_index_base_b, .Lfunc_end10-_ZN9rocsparseL29bsrmmnn_small_blockdim_kernelILj64ELj8ELj2Eli21rocsparse_complex_numIdES2_S2_S2_EEv20rocsparse_direction_T3_S4_llNS_24const_host_device_scalarIT7_EEPKT2_PKS4_PKT4_PKT5_llS7_PT6_ll16rocsparse_order_21rocsparse_index_base_b
                                        ; -- End function
	.set _ZN9rocsparseL29bsrmmnn_small_blockdim_kernelILj64ELj8ELj2Eli21rocsparse_complex_numIdES2_S2_S2_EEv20rocsparse_direction_T3_S4_llNS_24const_host_device_scalarIT7_EEPKT2_PKS4_PKT4_PKT5_llS7_PT6_ll16rocsparse_order_21rocsparse_index_base_b.num_vgpr, 79
	.set _ZN9rocsparseL29bsrmmnn_small_blockdim_kernelILj64ELj8ELj2Eli21rocsparse_complex_numIdES2_S2_S2_EEv20rocsparse_direction_T3_S4_llNS_24const_host_device_scalarIT7_EEPKT2_PKS4_PKT4_PKT5_llS7_PT6_ll16rocsparse_order_21rocsparse_index_base_b.num_agpr, 0
	.set _ZN9rocsparseL29bsrmmnn_small_blockdim_kernelILj64ELj8ELj2Eli21rocsparse_complex_numIdES2_S2_S2_EEv20rocsparse_direction_T3_S4_llNS_24const_host_device_scalarIT7_EEPKT2_PKS4_PKT4_PKT5_llS7_PT6_ll16rocsparse_order_21rocsparse_index_base_b.numbered_sgpr, 28
	.set _ZN9rocsparseL29bsrmmnn_small_blockdim_kernelILj64ELj8ELj2Eli21rocsparse_complex_numIdES2_S2_S2_EEv20rocsparse_direction_T3_S4_llNS_24const_host_device_scalarIT7_EEPKT2_PKS4_PKT4_PKT5_llS7_PT6_ll16rocsparse_order_21rocsparse_index_base_b.num_named_barrier, 0
	.set _ZN9rocsparseL29bsrmmnn_small_blockdim_kernelILj64ELj8ELj2Eli21rocsparse_complex_numIdES2_S2_S2_EEv20rocsparse_direction_T3_S4_llNS_24const_host_device_scalarIT7_EEPKT2_PKS4_PKT4_PKT5_llS7_PT6_ll16rocsparse_order_21rocsparse_index_base_b.private_seg_size, 0
	.set _ZN9rocsparseL29bsrmmnn_small_blockdim_kernelILj64ELj8ELj2Eli21rocsparse_complex_numIdES2_S2_S2_EEv20rocsparse_direction_T3_S4_llNS_24const_host_device_scalarIT7_EEPKT2_PKS4_PKT4_PKT5_llS7_PT6_ll16rocsparse_order_21rocsparse_index_base_b.uses_vcc, 1
	.set _ZN9rocsparseL29bsrmmnn_small_blockdim_kernelILj64ELj8ELj2Eli21rocsparse_complex_numIdES2_S2_S2_EEv20rocsparse_direction_T3_S4_llNS_24const_host_device_scalarIT7_EEPKT2_PKS4_PKT4_PKT5_llS7_PT6_ll16rocsparse_order_21rocsparse_index_base_b.uses_flat_scratch, 0
	.set _ZN9rocsparseL29bsrmmnn_small_blockdim_kernelILj64ELj8ELj2Eli21rocsparse_complex_numIdES2_S2_S2_EEv20rocsparse_direction_T3_S4_llNS_24const_host_device_scalarIT7_EEPKT2_PKS4_PKT4_PKT5_llS7_PT6_ll16rocsparse_order_21rocsparse_index_base_b.has_dyn_sized_stack, 0
	.set _ZN9rocsparseL29bsrmmnn_small_blockdim_kernelILj64ELj8ELj2Eli21rocsparse_complex_numIdES2_S2_S2_EEv20rocsparse_direction_T3_S4_llNS_24const_host_device_scalarIT7_EEPKT2_PKS4_PKT4_PKT5_llS7_PT6_ll16rocsparse_order_21rocsparse_index_base_b.has_recursion, 0
	.set _ZN9rocsparseL29bsrmmnn_small_blockdim_kernelILj64ELj8ELj2Eli21rocsparse_complex_numIdES2_S2_S2_EEv20rocsparse_direction_T3_S4_llNS_24const_host_device_scalarIT7_EEPKT2_PKS4_PKT4_PKT5_llS7_PT6_ll16rocsparse_order_21rocsparse_index_base_b.has_indirect_call, 0
	.section	.AMDGPU.csdata,"",@progbits
; Kernel info:
; codeLenInByte = 2340
; TotalNumSgprs: 32
; NumVgprs: 79
; ScratchSize: 0
; MemoryBound: 0
; FloatMode: 240
; IeeeMode: 1
; LDSByteSize: 3328 bytes/workgroup (compile time only)
; SGPRBlocks: 12
; VGPRBlocks: 19
; NumSGPRsForWavesPerEU: 102
; NumVGPRsForWavesPerEU: 79
; Occupancy: 3
; WaveLimiterHint : 0
; COMPUTE_PGM_RSRC2:SCRATCH_EN: 0
; COMPUTE_PGM_RSRC2:USER_SGPR: 6
; COMPUTE_PGM_RSRC2:TRAP_HANDLER: 0
; COMPUTE_PGM_RSRC2:TGID_X_EN: 1
; COMPUTE_PGM_RSRC2:TGID_Y_EN: 1
; COMPUTE_PGM_RSRC2:TGID_Z_EN: 0
; COMPUTE_PGM_RSRC2:TIDIG_COMP_CNT: 0
	.section	.text._ZN9rocsparseL29bsrmmnn_small_blockdim_kernelILj64ELj8ELj2Ell21rocsparse_complex_numIdES2_S2_S2_EEv20rocsparse_direction_T3_S4_llNS_24const_host_device_scalarIT7_EEPKT2_PKS4_PKT4_PKT5_llS7_PT6_ll16rocsparse_order_21rocsparse_index_base_b,"axG",@progbits,_ZN9rocsparseL29bsrmmnn_small_blockdim_kernelILj64ELj8ELj2Ell21rocsparse_complex_numIdES2_S2_S2_EEv20rocsparse_direction_T3_S4_llNS_24const_host_device_scalarIT7_EEPKT2_PKS4_PKT4_PKT5_llS7_PT6_ll16rocsparse_order_21rocsparse_index_base_b,comdat
	.globl	_ZN9rocsparseL29bsrmmnn_small_blockdim_kernelILj64ELj8ELj2Ell21rocsparse_complex_numIdES2_S2_S2_EEv20rocsparse_direction_T3_S4_llNS_24const_host_device_scalarIT7_EEPKT2_PKS4_PKT4_PKT5_llS7_PT6_ll16rocsparse_order_21rocsparse_index_base_b ; -- Begin function _ZN9rocsparseL29bsrmmnn_small_blockdim_kernelILj64ELj8ELj2Ell21rocsparse_complex_numIdES2_S2_S2_EEv20rocsparse_direction_T3_S4_llNS_24const_host_device_scalarIT7_EEPKT2_PKS4_PKT4_PKT5_llS7_PT6_ll16rocsparse_order_21rocsparse_index_base_b
	.p2align	8
	.type	_ZN9rocsparseL29bsrmmnn_small_blockdim_kernelILj64ELj8ELj2Ell21rocsparse_complex_numIdES2_S2_S2_EEv20rocsparse_direction_T3_S4_llNS_24const_host_device_scalarIT7_EEPKT2_PKS4_PKT4_PKT5_llS7_PT6_ll16rocsparse_order_21rocsparse_index_base_b,@function
_ZN9rocsparseL29bsrmmnn_small_blockdim_kernelILj64ELj8ELj2Ell21rocsparse_complex_numIdES2_S2_S2_EEv20rocsparse_direction_T3_S4_llNS_24const_host_device_scalarIT7_EEPKT2_PKS4_PKT4_PKT5_llS7_PT6_ll16rocsparse_order_21rocsparse_index_base_b: ; @_ZN9rocsparseL29bsrmmnn_small_blockdim_kernelILj64ELj8ELj2Ell21rocsparse_complex_numIdES2_S2_S2_EEv20rocsparse_direction_T3_S4_llNS_24const_host_device_scalarIT7_EEPKT2_PKS4_PKT4_PKT5_llS7_PT6_ll16rocsparse_order_21rocsparse_index_base_b
; %bb.0:
	s_load_dwordx2 s[0:1], s[4:5], 0x28
	s_load_dwordx4 s[20:23], s[4:5], 0x90
	s_add_u32 s8, s4, 40
	s_addc_u32 s9, s5, 0
	s_add_u32 s10, s4, 0x68
	s_addc_u32 s11, s5, 0
	s_waitcnt lgkmcnt(0)
	s_bitcmp1_b32 s22, 0
	s_cselect_b32 s1, s9, s1
	s_cselect_b32 s0, s8, s0
	v_mov_b32_e32 v1, s0
	v_mov_b32_e32 v2, s1
	flat_load_dwordx4 v[1:4], v[1:2]
	s_load_dwordx2 s[2:3], s[4:5], 0x68
	s_waitcnt lgkmcnt(0)
	s_cselect_b32 s0, s11, s3
	s_cselect_b32 s1, s10, s2
	v_mov_b32_e32 v5, s1
	v_mov_b32_e32 v6, s0
	flat_load_dwordx4 v[5:8], v[5:6]
	s_waitcnt vmcnt(0)
	v_cmp_eq_f64_e32 vcc, 0, v[1:2]
	v_cmp_eq_f64_e64 s[0:1], 0, v[3:4]
	s_and_b64 s[8:9], vcc, s[0:1]
	s_mov_b64 s[0:1], -1
	s_and_saveexec_b64 s[2:3], s[8:9]
	s_cbranch_execz .LBB11_2
; %bb.1:
	s_waitcnt lgkmcnt(0)
	v_cmp_neq_f64_e32 vcc, 1.0, v[5:6]
	v_cmp_neq_f64_e64 s[0:1], 0, v[7:8]
	s_or_b64 s[0:1], vcc, s[0:1]
	s_orn2_b64 s[0:1], s[0:1], exec
.LBB11_2:
	s_or_b64 exec, exec, s[2:3]
	s_and_saveexec_b64 s[2:3], s[0:1]
	s_cbranch_execz .LBB11_25
; %bb.3:
	s_load_dword s0, s[4:5], 0xa0
	s_load_dwordx4 s[16:19], s[4:5], 0x8
	s_add_u32 s1, s4, 0xa0
	s_addc_u32 s3, s5, 0
	v_mov_b32_e32 v18, 0
	s_waitcnt lgkmcnt(0)
	s_cmp_lt_u32 s6, s0
	s_cselect_b32 s2, 12, 18
	s_add_u32 s2, s1, s2
	s_addc_u32 s3, s3, 0
	global_load_ushort v10, v18, s[2:3]
	s_waitcnt vmcnt(0)
	v_mul_lo_u32 v9, s6, v10
	v_add_u32_e32 v9, v9, v0
	v_lshrrev_b32_e32 v17, 4, v9
	v_cmp_gt_i64_e32 vcc, s[16:17], v[17:18]
	s_and_b64 exec, exec, vcc
	s_cbranch_execz .LBB11_25
; %bb.4:
	s_load_dwordx2 s[2:3], s[4:5], 0x58
	s_load_dword s23, s[4:5], 0x0
	v_and_b32_e32 v37, 7, v9
	v_lshl_or_b32 v11, s7, 3, v37
	v_mul_lo_u32 v16, s0, v10
	s_waitcnt lgkmcnt(0)
	v_mad_u64_u32 v[13:14], s[6:7], s2, v11, 0
	s_load_dwordx4 s[24:27], s[4:5], 0x78
	s_load_dwordx8 s[8:15], s[4:5], 0x38
	v_mov_b32_e32 v12, v18
	v_mov_b32_e32 v10, v14
	v_mad_u64_u32 v[14:15], s[0:1], s3, v11, v[10:11]
	v_lshrrev_b32_e32 v38, 4, v16
	v_lshlrev_b64 v[15:16], 4, v[11:12]
	s_waitcnt lgkmcnt(0)
	v_mov_b32_e32 v10, s25
	v_add_co_u32_e32 v23, vcc, s24, v15
	v_addc_co_u32_e32 v24, vcc, v10, v16, vcc
	v_cmp_neq_f64_e32 vcc, 0, v[5:6]
	v_cmp_neq_f64_e64 s[0:1], 0, v[7:8]
	v_lshrrev_b32_e32 v10, 3, v0
	v_lshlrev_b32_e32 v0, 1, v9
	v_and_b32_e32 v19, 16, v0
	v_mov_b32_e32 v0, s13
	v_add_co_u32_e64 v25, s[2:3], s12, v19
	v_lshrrev_b32_e32 v15, 3, v9
	v_addc_co_u32_e64 v26, s[2:3], 0, v0, s[2:3]
	v_mov_b32_e32 v0, 0xc00
	v_lshl_or_b32 v0, v10, 6, v0
	s_or_b64 s[6:7], vcc, s[0:1]
	v_mul_u32_u24_e32 v40, 0x180, v10
	v_mad_u64_u32 v[9:10], s[0:1], v15, s26, 0
	v_add_co_u32_e32 v28, vcc, v25, v19
	v_mad_u64_u32 v[19:20], s[0:1], v15, s27, v[10:11]
	v_mad_u64_u32 v[21:22], s[0:1], s26, v11, 0
	v_mov_b32_e32 v10, v19
	v_cmp_gt_i64_e64 s[0:1], s[18:19], v[11:12]
	v_lshlrev_b64 v[9:10], 4, v[9:10]
	v_mov_b32_e32 v12, v22
	v_addc_co_u32_e32 v29, vcc, 0, v26, vcc
	v_mad_u64_u32 v[11:12], s[2:3], s27, v11, v[12:13]
	v_mov_b32_e32 v16, v18
	v_add_co_u32_e32 v19, vcc, v23, v9
	v_addc_co_u32_e32 v20, vcc, v24, v10, vcc
	v_lshlrev_b64 v[9:10], 4, v[15:16]
	v_mov_b32_e32 v22, v11
	v_mov_b32_e32 v11, s25
	v_add_co_u32_e32 v12, vcc, s24, v9
	v_addc_co_u32_e32 v11, vcc, v11, v10, vcc
	v_lshlrev_b64 v[9:10], 4, v[21:22]
	s_cmp_lg_u32 s20, 1
	v_add_co_u32_e32 v21, vcc, v12, v9
	s_cselect_b64 s[12:13], -1, 0
	s_cmp_eq_u32 s23, 0
	v_addc_co_u32_e32 v22, vcc, v11, v10, vcc
	v_lshlrev_b64 v[9:10], 4, v[13:14]
	s_cselect_b64 vcc, -1, 0
	v_cndmask_b32_e32 v41, v26, v29, vcc
	v_cndmask_b32_e32 v42, v25, v28, vcc
	s_and_b64 s[2:3], vcc, exec
	v_mov_b32_e32 v11, s15
	v_add_co_u32_e32 v43, vcc, s14, v9
	v_addc_co_u32_e32 v44, vcc, v11, v10, vcc
	v_mul_u32_u24_e32 v27, 48, v37
	v_subrev_co_u32_e32 v45, vcc, s21, v37
	s_mov_b32 s22, s21
	v_lshl_or_b32 v39, v37, 3, v0
	s_mov_b64 s[4:5], 0
	s_cselect_b32 s20, 16, 32
	s_cselect_b32 s23, 24, 40
	v_subb_co_u32_e64 v46, s[2:3], 0, 0, vcc
	v_add_u32_e32 v47, v40, v27
	s_branch .LBB11_6
.LBB11_5:                               ;   in Loop: Header=BB11_6 Depth=1
	s_or_b64 exec, exec, s[2:3]
	v_add_co_u32_e32 v17, vcc, v17, v38
	v_addc_co_u32_e32 v18, vcc, 0, v18, vcc
	v_cmp_le_i64_e32 vcc, s[16:17], v[17:18]
	s_or_b64 s[4:5], vcc, s[4:5]
	s_andn2_b64 exec, exec, s[4:5]
	s_cbranch_execz .LBB11_25
.LBB11_6:                               ; =>This Loop Header: Depth=1
                                        ;     Child Loop BB11_9 Depth 2
	v_lshlrev_b64 v[9:10], 3, v[17:18]
	v_mov_b32_e32 v11, s9
	v_add_co_u32_e32 v9, vcc, s8, v9
	v_addc_co_u32_e32 v10, vcc, v11, v10, vcc
	global_load_dwordx4 v[9:12], v[9:10], off
	v_mov_b32_e32 v31, 0
	v_mov_b32_e32 v33, 0
	;; [unrolled: 1-line block ×4, first 2 shown]
	s_waitcnt vmcnt(0)
	v_cmp_lt_i64_e32 vcc, v[9:10], v[11:12]
	s_and_saveexec_b64 s[14:15], vcc
	s_cbranch_execz .LBB11_14
; %bb.7:                                ;   in Loop: Header=BB11_6 Depth=1
	v_subrev_co_u32_e32 v23, vcc, s22, v11
	v_subbrev_co_u32_e32 v24, vcc, 0, v12, vcc
	v_subrev_co_u32_e32 v25, vcc, s22, v9
	v_subbrev_co_u32_e32 v26, vcc, 0, v10, vcc
	v_add_co_u32_e32 v9, vcc, v45, v9
	v_addc_co_u32_e32 v10, vcc, v46, v10, vcc
	v_lshlrev_b64 v[11:12], 3, v[9:10]
	v_mov_b32_e32 v13, s11
	v_add_co_u32_e32 v27, vcc, s10, v11
	v_lshlrev_b64 v[9:10], 6, v[9:10]
	v_addc_co_u32_e32 v28, vcc, v13, v12, vcc
	v_add_co_u32_e32 v29, vcc, v42, v9
	v_mov_b32_e32 v31, 0
	v_mov_b32_e32 v33, 0
	v_addc_co_u32_e32 v30, vcc, v41, v10, vcc
	v_mov_b32_e32 v32, 0
	v_mov_b32_e32 v34, 0
	s_mov_b64 s[18:19], 0
	s_branch .LBB11_9
.LBB11_8:                               ;   in Loop: Header=BB11_9 Depth=2
	s_or_b64 exec, exec, s[2:3]
	v_add_co_u32_e32 v25, vcc, 8, v25
	v_addc_co_u32_e32 v26, vcc, 0, v26, vcc
	v_add_co_u32_e32 v27, vcc, 64, v27
	v_addc_co_u32_e32 v28, vcc, 0, v28, vcc
	v_cmp_ge_i64_e64 s[2:3], v[25:26], v[23:24]
	v_add_co_u32_e32 v29, vcc, 0x200, v29
	s_or_b64 s[18:19], s[2:3], s[18:19]
	v_addc_co_u32_e32 v30, vcc, 0, v30, vcc
	s_andn2_b64 exec, exec, s[18:19]
	s_cbranch_execz .LBB11_13
.LBB11_9:                               ;   Parent Loop BB11_6 Depth=1
                                        ; =>  This Inner Loop Header: Depth=2
	v_add_co_u32_e32 v9, vcc, v37, v25
	v_addc_co_u32_e32 v10, vcc, 0, v26, vcc
	v_cmp_lt_i64_e32 vcc, v[9:10], v[23:24]
	v_mov_b32_e32 v35, 0
	v_mov_b32_e32 v9, 0
	;; [unrolled: 1-line block ×10, first 2 shown]
	s_and_saveexec_b64 s[2:3], vcc
	s_cbranch_execz .LBB11_11
; %bb.10:                               ;   in Loop: Header=BB11_9 Depth=2
	global_load_dwordx2 v[35:36], v[27:28], off
	global_load_dwordx4 v[9:12], v[29:30], off
	v_add_co_u32_e32 v48, vcc, s20, v29
	v_addc_co_u32_e32 v49, vcc, 0, v30, vcc
	v_add_co_u32_e32 v50, vcc, s23, v29
	v_addc_co_u32_e32 v51, vcc, 0, v30, vcc
	global_load_dwordx2 v[13:14], v[48:49], off
	global_load_dwordx2 v[15:16], v[50:51], off
	s_waitcnt vmcnt(3)
	v_subrev_co_u32_e32 v35, vcc, s22, v35
	v_subbrev_co_u32_e32 v36, vcc, 0, v36, vcc
	v_lshlrev_b64 v[35:36], 1, v[35:36]
.LBB11_11:                              ;   in Loop: Header=BB11_9 Depth=2
	s_or_b64 exec, exec, s[2:3]
	ds_write_b64 v39, v[35:36]
	s_waitcnt vmcnt(2)
	ds_write_b128 v47, v[9:12]
	s_waitcnt vmcnt(0)
	ds_write_b128 v47, v[13:16] offset:16
	s_waitcnt lgkmcnt(0)
	; wave barrier
	s_and_saveexec_b64 s[2:3], s[0:1]
	s_cbranch_execz .LBB11_8
; %bb.12:                               ;   in Loop: Header=BB11_9 Depth=2
	ds_read_b128 v[9:12], v0
	ds_read_b128 v[13:16], v0 offset:16
	s_waitcnt lgkmcnt(1)
	v_lshlrev_b64 v[9:10], 4, v[9:10]
	s_waitcnt lgkmcnt(0)
	v_lshlrev_b64 v[13:14], 4, v[13:14]
	v_add_co_u32_e32 v9, vcc, v43, v9
	v_addc_co_u32_e32 v10, vcc, v44, v10, vcc
	global_load_dwordx4 v[48:51], v[9:10], off
	global_load_dwordx4 v[52:55], v[9:10], off offset:16
	v_lshlrev_b64 v[9:10], 4, v[11:12]
	v_add_co_u32_e32 v35, vcc, v43, v9
	v_addc_co_u32_e32 v36, vcc, v44, v10, vcc
	global_load_dwordx4 v[9:12], v[35:36], off
	global_load_dwordx4 v[56:59], v[35:36], off offset:16
	v_add_co_u32_e32 v13, vcc, v43, v13
	v_addc_co_u32_e32 v14, vcc, v44, v14, vcc
	global_load_dwordx4 v[60:63], v[13:14], off
	global_load_dwordx4 v[68:71], v[13:14], off offset:16
	ds_read_b128 v[64:67], v40
	ds_read_b128 v[72:75], v40 offset:16
	s_waitcnt vmcnt(5) lgkmcnt(1)
	v_fma_f64 v[13:14], v[64:65], v[48:49], v[33:34]
	v_fma_f64 v[31:32], v[66:67], v[48:49], v[31:32]
	v_fma_f64 v[33:34], -v[66:67], v[50:51], v[13:14]
	v_fma_f64 v[31:32], v[64:65], v[50:51], v[31:32]
	v_lshlrev_b64 v[13:14], 4, v[15:16]
	v_add_co_u32_e32 v35, vcc, v43, v13
	v_addc_co_u32_e32 v36, vcc, v44, v14, vcc
	global_load_dwordx4 v[13:16], v[35:36], off
	global_load_dwordx4 v[48:51], v[35:36], off offset:16
	s_waitcnt vmcnt(6) lgkmcnt(0)
	v_fma_f64 v[33:34], v[72:73], v[52:53], v[33:34]
	v_fma_f64 v[31:32], v[74:75], v[52:53], v[31:32]
	v_fma_f64 v[64:65], -v[74:75], v[54:55], v[33:34]
	v_fma_f64 v[66:67], v[72:73], v[54:55], v[31:32]
	ds_read_b128 v[31:34], v40 offset:48
	ds_read_b128 v[52:55], v40 offset:64
	s_waitcnt vmcnt(5) lgkmcnt(1)
	v_fma_f64 v[35:36], v[31:32], v[9:10], v[64:65]
	v_fma_f64 v[9:10], v[33:34], v[9:10], v[66:67]
	ds_read_b128 v[64:67], v0 offset:32
	ds_read_b128 v[72:75], v0 offset:48
	v_fma_f64 v[33:34], -v[33:34], v[11:12], v[35:36]
	v_fma_f64 v[31:32], v[31:32], v[11:12], v[9:10]
	s_waitcnt lgkmcnt(1)
	v_lshlrev_b64 v[9:10], 4, v[64:65]
	v_add_co_u32_e32 v35, vcc, v43, v9
	v_addc_co_u32_e32 v36, vcc, v44, v10, vcc
	s_waitcnt vmcnt(4)
	v_fma_f64 v[33:34], v[52:53], v[56:57], v[33:34]
	v_fma_f64 v[31:32], v[54:55], v[56:57], v[31:32]
	global_load_dwordx4 v[9:12], v[35:36], off
	v_fma_f64 v[64:65], -v[54:55], v[58:59], v[33:34]
	v_fma_f64 v[76:77], v[52:53], v[58:59], v[31:32]
	ds_read_b128 v[31:34], v40 offset:96
	ds_read_b128 v[56:59], v40 offset:112
	global_load_dwordx4 v[52:55], v[35:36], off offset:16
	s_waitcnt vmcnt(5) lgkmcnt(1)
	v_fma_f64 v[35:36], v[31:32], v[60:61], v[64:65]
	v_fma_f64 v[60:61], v[33:34], v[60:61], v[76:77]
	v_fma_f64 v[35:36], -v[33:34], v[62:63], v[35:36]
	v_fma_f64 v[60:61], v[31:32], v[62:63], v[60:61]
	v_lshlrev_b64 v[31:32], 4, v[66:67]
	ds_read_b128 v[64:67], v40 offset:160
	v_add_co_u32_e32 v62, vcc, v43, v31
	v_addc_co_u32_e32 v63, vcc, v44, v32, vcc
	s_waitcnt vmcnt(4) lgkmcnt(1)
	v_fma_f64 v[35:36], v[56:57], v[68:69], v[35:36]
	v_fma_f64 v[60:61], v[58:59], v[68:69], v[60:61]
	global_load_dwordx4 v[31:34], v[62:63], off
	v_fma_f64 v[35:36], -v[58:59], v[70:71], v[35:36]
	v_fma_f64 v[68:69], v[56:57], v[70:71], v[60:61]
	ds_read_b128 v[56:59], v40 offset:144
	s_waitcnt vmcnt(4) lgkmcnt(0)
	v_fma_f64 v[35:36], v[56:57], v[13:14], v[35:36]
	v_fma_f64 v[13:14], v[58:59], v[13:14], v[68:69]
	v_fma_f64 v[35:36], -v[58:59], v[15:16], v[35:36]
	v_fma_f64 v[56:57], v[56:57], v[15:16], v[13:14]
	v_lshlrev_b64 v[13:14], 4, v[72:73]
	v_add_co_u32_e32 v58, vcc, v43, v13
	v_addc_co_u32_e32 v59, vcc, v44, v14, vcc
	global_load_dwordx4 v[13:16], v[58:59], off
	s_waitcnt vmcnt(4)
	v_fma_f64 v[35:36], v[64:65], v[48:49], v[35:36]
	global_load_dwordx4 v[60:63], v[62:63], off offset:16
	v_fma_f64 v[48:49], v[66:67], v[48:49], v[56:57]
	global_load_dwordx4 v[56:59], v[58:59], off offset:16
	v_fma_f64 v[35:36], -v[66:67], v[50:51], v[35:36]
	v_fma_f64 v[68:69], v[64:65], v[50:51], v[48:49]
	ds_read_b128 v[48:51], v40 offset:192
	ds_read_b128 v[64:67], v40 offset:208
	s_waitcnt vmcnt(5) lgkmcnt(1)
	v_fma_f64 v[35:36], v[48:49], v[9:10], v[35:36]
	v_fma_f64 v[9:10], v[50:51], v[9:10], v[68:69]
	v_fma_f64 v[35:36], -v[50:51], v[11:12], v[35:36]
	v_fma_f64 v[48:49], v[48:49], v[11:12], v[9:10]
	v_lshlrev_b64 v[9:10], 4, v[74:75]
	v_add_co_u32_e32 v68, vcc, v43, v9
	v_addc_co_u32_e32 v69, vcc, v44, v10, vcc
	global_load_dwordx4 v[9:12], v[68:69], off
	s_waitcnt vmcnt(5) lgkmcnt(0)
	v_fma_f64 v[35:36], v[64:65], v[52:53], v[35:36]
	v_fma_f64 v[48:49], v[66:67], v[52:53], v[48:49]
	v_fma_f64 v[35:36], -v[66:67], v[54:55], v[35:36]
	v_fma_f64 v[70:71], v[64:65], v[54:55], v[48:49]
	ds_read_b128 v[48:51], v40 offset:240
	ds_read_b128 v[64:67], v40 offset:256
	global_load_dwordx4 v[52:55], v[68:69], off offset:16
	s_waitcnt vmcnt(5) lgkmcnt(1)
	v_fma_f64 v[35:36], v[48:49], v[31:32], v[35:36]
	v_fma_f64 v[31:32], v[50:51], v[31:32], v[70:71]
	v_fma_f64 v[35:36], -v[50:51], v[33:34], v[35:36]
	v_fma_f64 v[31:32], v[48:49], v[33:34], v[31:32]
	s_waitcnt vmcnt(3) lgkmcnt(0)
	v_fma_f64 v[33:34], v[64:65], v[60:61], v[35:36]
	v_fma_f64 v[31:32], v[66:67], v[60:61], v[31:32]
	v_fma_f64 v[35:36], -v[66:67], v[62:63], v[33:34]
	v_fma_f64 v[60:61], v[64:65], v[62:63], v[31:32]
	ds_read_b128 v[31:34], v40 offset:288
	ds_read_b128 v[48:51], v40 offset:304
	s_waitcnt lgkmcnt(1)
	v_fma_f64 v[35:36], v[31:32], v[13:14], v[35:36]
	v_fma_f64 v[13:14], v[33:34], v[13:14], v[60:61]
	v_fma_f64 v[33:34], -v[33:34], v[15:16], v[35:36]
	v_fma_f64 v[13:14], v[31:32], v[15:16], v[13:14]
	s_waitcnt vmcnt(2) lgkmcnt(0)
	v_fma_f64 v[15:16], v[48:49], v[56:57], v[33:34]
	v_fma_f64 v[13:14], v[50:51], v[56:57], v[13:14]
	v_fma_f64 v[35:36], -v[50:51], v[58:59], v[15:16]
	v_fma_f64 v[48:49], v[48:49], v[58:59], v[13:14]
	ds_read_b128 v[13:16], v40 offset:336
	ds_read_b128 v[31:34], v40 offset:352
	s_waitcnt vmcnt(1) lgkmcnt(1)
	v_fma_f64 v[35:36], v[13:14], v[9:10], v[35:36]
	v_fma_f64 v[9:10], v[15:16], v[9:10], v[48:49]
	v_fma_f64 v[15:16], -v[15:16], v[11:12], v[35:36]
	v_fma_f64 v[9:10], v[13:14], v[11:12], v[9:10]
	s_waitcnt vmcnt(0) lgkmcnt(0)
	v_fma_f64 v[11:12], v[31:32], v[52:53], v[15:16]
	v_fma_f64 v[9:10], v[33:34], v[52:53], v[9:10]
	v_fma_f64 v[33:34], -v[33:34], v[54:55], v[11:12]
	v_fma_f64 v[31:32], v[31:32], v[54:55], v[9:10]
	s_branch .LBB11_8
.LBB11_13:                              ;   in Loop: Header=BB11_6 Depth=1
	s_or_b64 exec, exec, s[18:19]
.LBB11_14:                              ;   in Loop: Header=BB11_6 Depth=1
	s_or_b64 exec, exec, s[14:15]
	s_and_saveexec_b64 s[2:3], s[0:1]
	s_cbranch_execz .LBB11_5
; %bb.15:                               ;   in Loop: Header=BB11_6 Depth=1
	v_mul_f64 v[9:10], v[31:32], -v[3:4]
	v_mul_f64 v[11:12], v[1:2], v[31:32]
	v_fma_f64 v[9:10], v[1:2], v[33:34], v[9:10]
	v_fma_f64 v[11:12], v[3:4], v[33:34], v[11:12]
	s_and_saveexec_b64 s[14:15], s[6:7]
	s_xor_b64 s[14:15], exec, s[14:15]
	s_cbranch_execz .LBB11_20
; %bb.16:                               ;   in Loop: Header=BB11_6 Depth=1
	s_mov_b64 s[18:19], -1
	s_and_b64 vcc, exec, s[12:13]
	s_cbranch_vccz .LBB11_18
; %bb.17:                               ;   in Loop: Header=BB11_6 Depth=1
	global_load_dwordx4 v[13:16], v[19:20], off
	s_mov_b64 s[18:19], 0
	s_waitcnt vmcnt(0)
	v_fma_f64 v[23:24], v[5:6], v[13:14], v[9:10]
	v_fma_f64 v[25:26], v[7:8], v[13:14], v[11:12]
	v_fma_f64 v[13:14], -v[7:8], v[15:16], v[23:24]
	v_fma_f64 v[15:16], v[5:6], v[15:16], v[25:26]
	global_store_dwordx4 v[19:20], v[13:16], off
.LBB11_18:                              ;   in Loop: Header=BB11_6 Depth=1
	s_andn2_b64 vcc, exec, s[18:19]
	s_cbranch_vccnz .LBB11_20
; %bb.19:                               ;   in Loop: Header=BB11_6 Depth=1
	global_load_dwordx4 v[13:16], v[21:22], off
	s_waitcnt vmcnt(0)
	v_fma_f64 v[9:10], v[5:6], v[13:14], v[9:10]
	v_fma_f64 v[11:12], v[7:8], v[13:14], v[11:12]
	v_fma_f64 v[9:10], -v[7:8], v[15:16], v[9:10]
	v_fma_f64 v[11:12], v[5:6], v[15:16], v[11:12]
	global_store_dwordx4 v[21:22], v[9:12], off
                                        ; implicit-def: $vgpr9_vgpr10
.LBB11_20:                              ;   in Loop: Header=BB11_6 Depth=1
	s_andn2_saveexec_b64 s[14:15], s[14:15]
	s_cbranch_execz .LBB11_5
; %bb.21:                               ;   in Loop: Header=BB11_6 Depth=1
	s_mov_b64 s[14:15], -1
	s_and_b64 vcc, exec, s[12:13]
	s_cbranch_vccz .LBB11_23
; %bb.22:                               ;   in Loop: Header=BB11_6 Depth=1
	global_store_dwordx4 v[19:20], v[9:12], off
	s_mov_b64 s[14:15], 0
.LBB11_23:                              ;   in Loop: Header=BB11_6 Depth=1
	s_andn2_b64 vcc, exec, s[14:15]
	s_cbranch_vccnz .LBB11_5
; %bb.24:                               ;   in Loop: Header=BB11_6 Depth=1
	global_store_dwordx4 v[21:22], v[9:12], off
	s_branch .LBB11_5
.LBB11_25:
	s_endpgm
	.section	.rodata,"a",@progbits
	.p2align	6, 0x0
	.amdhsa_kernel _ZN9rocsparseL29bsrmmnn_small_blockdim_kernelILj64ELj8ELj2Ell21rocsparse_complex_numIdES2_S2_S2_EEv20rocsparse_direction_T3_S4_llNS_24const_host_device_scalarIT7_EEPKT2_PKS4_PKT4_PKT5_llS7_PT6_ll16rocsparse_order_21rocsparse_index_base_b
		.amdhsa_group_segment_fixed_size 3584
		.amdhsa_private_segment_fixed_size 0
		.amdhsa_kernarg_size 416
		.amdhsa_user_sgpr_count 6
		.amdhsa_user_sgpr_private_segment_buffer 1
		.amdhsa_user_sgpr_dispatch_ptr 0
		.amdhsa_user_sgpr_queue_ptr 0
		.amdhsa_user_sgpr_kernarg_segment_ptr 1
		.amdhsa_user_sgpr_dispatch_id 0
		.amdhsa_user_sgpr_flat_scratch_init 0
		.amdhsa_user_sgpr_private_segment_size 0
		.amdhsa_uses_dynamic_stack 0
		.amdhsa_system_sgpr_private_segment_wavefront_offset 0
		.amdhsa_system_sgpr_workgroup_id_x 1
		.amdhsa_system_sgpr_workgroup_id_y 1
		.amdhsa_system_sgpr_workgroup_id_z 0
		.amdhsa_system_sgpr_workgroup_info 0
		.amdhsa_system_vgpr_workitem_id 0
		.amdhsa_next_free_vgpr 78
		.amdhsa_next_free_sgpr 98
		.amdhsa_reserve_vcc 1
		.amdhsa_reserve_flat_scratch 0
		.amdhsa_float_round_mode_32 0
		.amdhsa_float_round_mode_16_64 0
		.amdhsa_float_denorm_mode_32 3
		.amdhsa_float_denorm_mode_16_64 3
		.amdhsa_dx10_clamp 1
		.amdhsa_ieee_mode 1
		.amdhsa_fp16_overflow 0
		.amdhsa_exception_fp_ieee_invalid_op 0
		.amdhsa_exception_fp_denorm_src 0
		.amdhsa_exception_fp_ieee_div_zero 0
		.amdhsa_exception_fp_ieee_overflow 0
		.amdhsa_exception_fp_ieee_underflow 0
		.amdhsa_exception_fp_ieee_inexact 0
		.amdhsa_exception_int_div_zero 0
	.end_amdhsa_kernel
	.section	.text._ZN9rocsparseL29bsrmmnn_small_blockdim_kernelILj64ELj8ELj2Ell21rocsparse_complex_numIdES2_S2_S2_EEv20rocsparse_direction_T3_S4_llNS_24const_host_device_scalarIT7_EEPKT2_PKS4_PKT4_PKT5_llS7_PT6_ll16rocsparse_order_21rocsparse_index_base_b,"axG",@progbits,_ZN9rocsparseL29bsrmmnn_small_blockdim_kernelILj64ELj8ELj2Ell21rocsparse_complex_numIdES2_S2_S2_EEv20rocsparse_direction_T3_S4_llNS_24const_host_device_scalarIT7_EEPKT2_PKS4_PKT4_PKT5_llS7_PT6_ll16rocsparse_order_21rocsparse_index_base_b,comdat
.Lfunc_end11:
	.size	_ZN9rocsparseL29bsrmmnn_small_blockdim_kernelILj64ELj8ELj2Ell21rocsparse_complex_numIdES2_S2_S2_EEv20rocsparse_direction_T3_S4_llNS_24const_host_device_scalarIT7_EEPKT2_PKS4_PKT4_PKT5_llS7_PT6_ll16rocsparse_order_21rocsparse_index_base_b, .Lfunc_end11-_ZN9rocsparseL29bsrmmnn_small_blockdim_kernelILj64ELj8ELj2Ell21rocsparse_complex_numIdES2_S2_S2_EEv20rocsparse_direction_T3_S4_llNS_24const_host_device_scalarIT7_EEPKT2_PKS4_PKT4_PKT5_llS7_PT6_ll16rocsparse_order_21rocsparse_index_base_b
                                        ; -- End function
	.set _ZN9rocsparseL29bsrmmnn_small_blockdim_kernelILj64ELj8ELj2Ell21rocsparse_complex_numIdES2_S2_S2_EEv20rocsparse_direction_T3_S4_llNS_24const_host_device_scalarIT7_EEPKT2_PKS4_PKT4_PKT5_llS7_PT6_ll16rocsparse_order_21rocsparse_index_base_b.num_vgpr, 78
	.set _ZN9rocsparseL29bsrmmnn_small_blockdim_kernelILj64ELj8ELj2Ell21rocsparse_complex_numIdES2_S2_S2_EEv20rocsparse_direction_T3_S4_llNS_24const_host_device_scalarIT7_EEPKT2_PKS4_PKT4_PKT5_llS7_PT6_ll16rocsparse_order_21rocsparse_index_base_b.num_agpr, 0
	.set _ZN9rocsparseL29bsrmmnn_small_blockdim_kernelILj64ELj8ELj2Ell21rocsparse_complex_numIdES2_S2_S2_EEv20rocsparse_direction_T3_S4_llNS_24const_host_device_scalarIT7_EEPKT2_PKS4_PKT4_PKT5_llS7_PT6_ll16rocsparse_order_21rocsparse_index_base_b.numbered_sgpr, 28
	.set _ZN9rocsparseL29bsrmmnn_small_blockdim_kernelILj64ELj8ELj2Ell21rocsparse_complex_numIdES2_S2_S2_EEv20rocsparse_direction_T3_S4_llNS_24const_host_device_scalarIT7_EEPKT2_PKS4_PKT4_PKT5_llS7_PT6_ll16rocsparse_order_21rocsparse_index_base_b.num_named_barrier, 0
	.set _ZN9rocsparseL29bsrmmnn_small_blockdim_kernelILj64ELj8ELj2Ell21rocsparse_complex_numIdES2_S2_S2_EEv20rocsparse_direction_T3_S4_llNS_24const_host_device_scalarIT7_EEPKT2_PKS4_PKT4_PKT5_llS7_PT6_ll16rocsparse_order_21rocsparse_index_base_b.private_seg_size, 0
	.set _ZN9rocsparseL29bsrmmnn_small_blockdim_kernelILj64ELj8ELj2Ell21rocsparse_complex_numIdES2_S2_S2_EEv20rocsparse_direction_T3_S4_llNS_24const_host_device_scalarIT7_EEPKT2_PKS4_PKT4_PKT5_llS7_PT6_ll16rocsparse_order_21rocsparse_index_base_b.uses_vcc, 1
	.set _ZN9rocsparseL29bsrmmnn_small_blockdim_kernelILj64ELj8ELj2Ell21rocsparse_complex_numIdES2_S2_S2_EEv20rocsparse_direction_T3_S4_llNS_24const_host_device_scalarIT7_EEPKT2_PKS4_PKT4_PKT5_llS7_PT6_ll16rocsparse_order_21rocsparse_index_base_b.uses_flat_scratch, 0
	.set _ZN9rocsparseL29bsrmmnn_small_blockdim_kernelILj64ELj8ELj2Ell21rocsparse_complex_numIdES2_S2_S2_EEv20rocsparse_direction_T3_S4_llNS_24const_host_device_scalarIT7_EEPKT2_PKS4_PKT4_PKT5_llS7_PT6_ll16rocsparse_order_21rocsparse_index_base_b.has_dyn_sized_stack, 0
	.set _ZN9rocsparseL29bsrmmnn_small_blockdim_kernelILj64ELj8ELj2Ell21rocsparse_complex_numIdES2_S2_S2_EEv20rocsparse_direction_T3_S4_llNS_24const_host_device_scalarIT7_EEPKT2_PKS4_PKT4_PKT5_llS7_PT6_ll16rocsparse_order_21rocsparse_index_base_b.has_recursion, 0
	.set _ZN9rocsparseL29bsrmmnn_small_blockdim_kernelILj64ELj8ELj2Ell21rocsparse_complex_numIdES2_S2_S2_EEv20rocsparse_direction_T3_S4_llNS_24const_host_device_scalarIT7_EEPKT2_PKS4_PKT4_PKT5_llS7_PT6_ll16rocsparse_order_21rocsparse_index_base_b.has_indirect_call, 0
	.section	.AMDGPU.csdata,"",@progbits
; Kernel info:
; codeLenInByte = 2312
; TotalNumSgprs: 32
; NumVgprs: 78
; ScratchSize: 0
; MemoryBound: 1
; FloatMode: 240
; IeeeMode: 1
; LDSByteSize: 3584 bytes/workgroup (compile time only)
; SGPRBlocks: 12
; VGPRBlocks: 19
; NumSGPRsForWavesPerEU: 102
; NumVGPRsForWavesPerEU: 78
; Occupancy: 3
; WaveLimiterHint : 1
; COMPUTE_PGM_RSRC2:SCRATCH_EN: 0
; COMPUTE_PGM_RSRC2:USER_SGPR: 6
; COMPUTE_PGM_RSRC2:TRAP_HANDLER: 0
; COMPUTE_PGM_RSRC2:TGID_X_EN: 1
; COMPUTE_PGM_RSRC2:TGID_Y_EN: 1
; COMPUTE_PGM_RSRC2:TGID_Z_EN: 0
; COMPUTE_PGM_RSRC2:TIDIG_COMP_CNT: 0
	.section	.text._ZN9rocsparseL29bsrmmnn_small_blockdim_kernelILj64ELj8ELj2EiiDF16_DF16_ffEEv20rocsparse_direction_T3_S2_llNS_24const_host_device_scalarIT7_EEPKT2_PKS2_PKT4_PKT5_llS5_PT6_ll16rocsparse_order_21rocsparse_index_base_b,"axG",@progbits,_ZN9rocsparseL29bsrmmnn_small_blockdim_kernelILj64ELj8ELj2EiiDF16_DF16_ffEEv20rocsparse_direction_T3_S2_llNS_24const_host_device_scalarIT7_EEPKT2_PKS2_PKT4_PKT5_llS5_PT6_ll16rocsparse_order_21rocsparse_index_base_b,comdat
	.globl	_ZN9rocsparseL29bsrmmnn_small_blockdim_kernelILj64ELj8ELj2EiiDF16_DF16_ffEEv20rocsparse_direction_T3_S2_llNS_24const_host_device_scalarIT7_EEPKT2_PKS2_PKT4_PKT5_llS5_PT6_ll16rocsparse_order_21rocsparse_index_base_b ; -- Begin function _ZN9rocsparseL29bsrmmnn_small_blockdim_kernelILj64ELj8ELj2EiiDF16_DF16_ffEEv20rocsparse_direction_T3_S2_llNS_24const_host_device_scalarIT7_EEPKT2_PKS2_PKT4_PKT5_llS5_PT6_ll16rocsparse_order_21rocsparse_index_base_b
	.p2align	8
	.type	_ZN9rocsparseL29bsrmmnn_small_blockdim_kernelILj64ELj8ELj2EiiDF16_DF16_ffEEv20rocsparse_direction_T3_S2_llNS_24const_host_device_scalarIT7_EEPKT2_PKS2_PKT4_PKT5_llS5_PT6_ll16rocsparse_order_21rocsparse_index_base_b,@function
_ZN9rocsparseL29bsrmmnn_small_blockdim_kernelILj64ELj8ELj2EiiDF16_DF16_ffEEv20rocsparse_direction_T3_S2_llNS_24const_host_device_scalarIT7_EEPKT2_PKS2_PKT4_PKT5_llS5_PT6_ll16rocsparse_order_21rocsparse_index_base_b: ; @_ZN9rocsparseL29bsrmmnn_small_blockdim_kernelILj64ELj8ELj2EiiDF16_DF16_ffEEv20rocsparse_direction_T3_S2_llNS_24const_host_device_scalarIT7_EEPKT2_PKS2_PKT4_PKT5_llS5_PT6_ll16rocsparse_order_21rocsparse_index_base_b
; %bb.0:
	s_load_dwordx4 s[16:19], s[4:5], 0x78
	s_load_dwordx2 s[28:29], s[4:5], 0x20
	s_load_dwordx2 s[30:31], s[4:5], 0x58
	s_waitcnt lgkmcnt(0)
	s_bitcmp1_b32 s18, 0
	s_cselect_b64 s[2:3], -1, 0
	s_xor_b64 s[0:1], s[2:3], -1
	s_and_b64 vcc, exec, s[2:3]
	s_cbranch_vccnz .LBB12_2
; %bb.1:
	s_load_dword s28, s[28:29], 0x0
.LBB12_2:
	s_andn2_b64 vcc, exec, s[0:1]
	s_cbranch_vccnz .LBB12_4
; %bb.3:
	s_load_dword s30, s[30:31], 0x0
.LBB12_4:
	s_waitcnt lgkmcnt(0)
	v_cmp_eq_f32_e64 s[0:1], s28, 0
	v_cmp_eq_f32_e64 s[2:3], s30, 1.0
	s_and_b64 s[0:1], s[0:1], s[2:3]
	s_and_b64 vcc, exec, s[0:1]
	s_cbranch_vccnz .LBB12_28
; %bb.5:
	s_load_dword s0, s[4:5], 0x88
	s_load_dwordx4 s[20:23], s[4:5], 0x0
	s_add_u32 s1, s4, 0x88
	s_addc_u32 s3, s5, 0
	v_mov_b32_e32 v1, 0
	s_waitcnt lgkmcnt(0)
	s_cmp_lt_u32 s6, s0
	s_cselect_b32 s2, 12, 18
	s_add_u32 s2, s1, s2
	s_addc_u32 s3, s3, 0
	global_load_ushort v4, v1, s[2:3]
	s_waitcnt vmcnt(0)
	v_mul_lo_u32 v2, s6, v4
	v_add_u32_e32 v3, v2, v0
	v_lshrrev_b32_e32 v2, 4, v3
	v_cmp_gt_i32_e32 vcc, s21, v2
	s_and_saveexec_b64 s[2:3], vcc
	s_cbranch_execz .LBB12_28
; %bb.6:
	v_mul_lo_u32 v4, s0, v4
	s_load_dwordx4 s[24:27], s[4:5], 0x60
	s_load_dwordx2 s[0:1], s[4:5], 0x48
	v_and_b32_e32 v11, 7, v3
	v_lshl_or_b32 v6, s7, 3, v11
	v_ashrrev_i32_e32 v7, 31, v6
	v_lshrrev_b32_e32 v12, 4, v4
	s_waitcnt lgkmcnt(0)
	v_mul_lo_u32 v13, s0, v7
	v_mul_lo_u32 v14, s1, v6
	v_mad_u64_u32 v[8:9], s[0:1], s0, v6, 0
	v_lshrrev_b32_e32 v10, 3, v3
	v_bfe_u32 v17, v3, 3, 1
	v_lshlrev_b64 v[3:4], 2, v[6:7]
	s_load_dwordx8 s[8:15], s[4:5], 0x28
	v_mov_b32_e32 v5, s25
	v_add_co_u32_e32 v18, vcc, s24, v3
	v_add3_u32 v9, v9, v13, v14
	v_addc_co_u32_e32 v19, vcc, v5, v4, vcc
	v_lshlrev_b64 v[3:4], 1, v[8:9]
	v_mad_u64_u32 v[8:9], s[0:1], s26, v10, 0
	v_lshrrev_b32_e32 v5, 3, v0
	v_mov_b32_e32 v0, 0x180
	v_lshl_add_u32 v13, v5, 5, v0
	s_waitcnt lgkmcnt(0)
	v_mov_b32_e32 v0, s15
	v_add_co_u32_e32 v14, vcc, s14, v3
	v_addc_co_u32_e32 v15, vcc, v0, v4, vcc
	v_mov_b32_e32 v0, v9
	v_mad_u64_u32 v[3:4], s[0:1], s27, v10, v[0:1]
	v_mul_u32_u24_e32 v16, 48, v5
	v_cmp_gt_i32_e64 s[0:1], s22, v6
	v_mov_b32_e32 v9, v3
	v_lshlrev_b64 v[4:5], 2, v[8:9]
	v_mul_lo_u32 v8, s26, v7
	v_add_co_u32_e64 v4, s[2:3], v18, v4
	v_addc_co_u32_e64 v5, s[2:3], v19, v5, s[2:3]
	v_mul_lo_u32 v9, s27, v6
	v_mad_u64_u32 v[6:7], s[2:3], s26, v6, 0
	s_cmp_eq_u32 s20, 0
	v_lshlrev_b32_e32 v21, 1, v17
	v_add3_u32 v7, v7, v8, v9
	v_lshlrev_b64 v[6:7], 2, v[6:7]
	v_mov_b32_e32 v8, s25
	v_add_co_u32_e64 v6, s[2:3], s24, v6
	v_addc_co_u32_e64 v7, s[2:3], v8, v7, s[2:3]
	v_lshlrev_b32_e32 v8, 2, v10
	v_add_co_u32_e64 v6, s[2:3], v6, v8
	v_or_b32_e32 v20, 2, v17
	s_cselect_b64 vcc, -1, 0
	v_mul_u32_u24_e32 v0, 6, v11
	v_or_b32_e32 v3, 1, v21
	s_cmp_lg_u32 s16, 1
	v_addc_co_u32_e64 v7, s[2:3], 0, v7, s[2:3]
	v_cmp_neq_f32_e64 s[4:5], s30, 0
	s_cselect_b64 s[6:7], -1, 0
	v_cndmask_b32_e32 v17, v17, v21, vcc
	v_cndmask_b32_e32 v18, v20, v3, vcc
	v_subrev_u32_e32 v19, s17, v11
	s_mov_b64 s[2:3], 0
	v_add_u32_e32 v20, v16, v0
	s_branch .LBB12_8
.LBB12_7:                               ;   in Loop: Header=BB12_8 Depth=1
	s_or_b64 exec, exec, s[14:15]
	v_add_u32_e32 v2, v2, v12
	v_cmp_le_i32_e32 vcc, s21, v2
	s_or_b64 s[2:3], vcc, s[2:3]
	s_andn2_b64 exec, exec, s[2:3]
	s_cbranch_execz .LBB12_28
.LBB12_8:                               ; =>This Loop Header: Depth=1
                                        ;     Child Loop BB12_11 Depth 2
	v_mov_b32_e32 v3, v1
	v_lshlrev_b64 v[8:9], 2, v[2:3]
	v_mov_b32_e32 v0, s9
	v_add_co_u32_e32 v8, vcc, s8, v8
	v_addc_co_u32_e32 v9, vcc, v0, v9, vcc
	global_load_dwordx2 v[8:9], v[8:9], off
	v_mov_b32_e32 v22, 0
	s_waitcnt vmcnt(0)
	v_cmp_lt_i32_e32 vcc, v8, v9
	s_and_saveexec_b64 s[14:15], vcc
	s_cbranch_execz .LBB12_16
; %bb.9:                                ;   in Loop: Header=BB12_8 Depth=1
	v_add_lshl_u32 v0, v19, v8, 2
	v_subrev_u32_e32 v3, s17, v9
	v_subrev_u32_e32 v21, s17, v8
	v_or_b32_e32 v8, v18, v0
	v_or_b32_e32 v0, v17, v0
	v_mov_b32_e32 v22, 0
	s_mov_b64 s[18:19], 0
	s_branch .LBB12_11
.LBB12_10:                              ;   in Loop: Header=BB12_11 Depth=2
	s_or_b64 exec, exec, s[22:23]
	v_add_u32_e32 v21, 8, v21
	v_cmp_ge_i32_e32 vcc, v21, v3
	v_add_u32_e32 v8, 32, v8
	s_or_b64 s[18:19], vcc, s[18:19]
	v_add_u32_e32 v0, 32, v0
	s_andn2_b64 exec, exec, s[18:19]
	s_cbranch_execz .LBB12_15
.LBB12_11:                              ;   Parent Loop BB12_8 Depth=1
                                        ; =>  This Inner Loop Header: Depth=2
	v_add_u32_e32 v9, v11, v21
	v_cmp_lt_i32_e32 vcc, v9, v3
	v_mov_b32_e32 v24, 0
	v_mov_b32_e32 v10, 0
	;; [unrolled: 1-line block ×3, first 2 shown]
	s_and_saveexec_b64 s[22:23], vcc
	s_cbranch_execz .LBB12_13
; %bb.12:                               ;   in Loop: Header=BB12_11 Depth=2
	v_ashrrev_i32_e32 v10, 31, v9
	v_lshlrev_b64 v[9:10], 2, v[9:10]
	v_mov_b32_e32 v23, s11
	v_add_co_u32_e32 v9, vcc, s10, v9
	v_addc_co_u32_e32 v10, vcc, v23, v10, vcc
	global_load_dword v28, v[9:10], off
	v_lshlrev_b64 v[9:10], 1, v[0:1]
	v_mov_b32_e32 v23, s13
	v_add_co_u32_e32 v24, vcc, s12, v9
	v_mov_b32_e32 v9, v1
	v_addc_co_u32_e32 v25, vcc, v23, v10, vcc
	v_lshlrev_b64 v[9:10], 1, v[8:9]
	v_add_co_u32_e32 v26, vcc, s12, v9
	v_addc_co_u32_e32 v27, vcc, v23, v10, vcc
	global_load_ushort v10, v[24:25], off
	global_load_ushort v23, v[26:27], off
	s_waitcnt vmcnt(2)
	v_subrev_u32_e32 v9, s17, v28
	v_lshlrev_b32_e32 v24, 1, v9
.LBB12_13:                              ;   in Loop: Header=BB12_11 Depth=2
	s_or_b64 exec, exec, s[22:23]
	v_lshl_or_b32 v9, v11, 2, v13
	ds_write_b32 v9, v24
	s_waitcnt vmcnt(1)
	ds_write_b16 v20, v10
	s_waitcnt vmcnt(0)
	ds_write_b16 v20, v23 offset:2
	s_waitcnt lgkmcnt(0)
	; wave barrier
	s_and_saveexec_b64 s[22:23], s[0:1]
	s_cbranch_execz .LBB12_10
; %bb.14:                               ;   in Loop: Header=BB12_11 Depth=2
	ds_read_b128 v[23:26], v13
	ds_read_b128 v[27:30], v13 offset:16
	s_waitcnt lgkmcnt(1)
	v_ashrrev_i32_e32 v10, 31, v23
	v_mov_b32_e32 v9, v23
	v_lshlrev_b64 v[9:10], 1, v[9:10]
	v_ashrrev_i32_e32 v32, 31, v24
	v_mov_b32_e32 v31, v24
	v_add_co_u32_e32 v9, vcc, v14, v9
	v_lshlrev_b64 v[23:24], 1, v[31:32]
	v_addc_co_u32_e32 v10, vcc, v15, v10, vcc
	v_ashrrev_i32_e32 v32, 31, v25
	v_mov_b32_e32 v31, v25
	v_add_co_u32_e32 v23, vcc, v14, v23
	v_lshlrev_b64 v[31:32], 1, v[31:32]
	v_addc_co_u32_e32 v24, vcc, v15, v24, vcc
	;; [unrolled: 5-line block ×3, first 2 shown]
	s_waitcnt lgkmcnt(0)
	v_ashrrev_i32_e32 v34, 31, v27
	v_mov_b32_e32 v33, v27
	v_add_co_u32_e32 v25, vcc, v14, v25
	v_lshlrev_b64 v[33:34], 1, v[33:34]
	v_addc_co_u32_e32 v26, vcc, v15, v26, vcc
	v_ashrrev_i32_e32 v36, 31, v28
	v_mov_b32_e32 v35, v28
	v_add_co_u32_e32 v33, vcc, v14, v33
	v_lshlrev_b64 v[27:28], 1, v[35:36]
	v_addc_co_u32_e32 v34, vcc, v15, v34, vcc
	v_add_co_u32_e32 v27, vcc, v14, v27
	v_addc_co_u32_e32 v28, vcc, v15, v28, vcc
	global_load_dword v35, v[9:10], off
	global_load_dword v36, v[23:24], off
	;; [unrolled: 1-line block ×5, first 2 shown]
                                        ; kill: killed $vgpr25 killed $vgpr26
                                        ; kill: killed $vgpr31 killed $vgpr32
                                        ; kill: killed $vgpr33 killed $vgpr34
                                        ; kill: killed $vgpr9 killed $vgpr10
                                        ; kill: killed $vgpr23 killed $vgpr24
	s_nop 0
	global_load_dword v25, v[27:28], off
	v_ashrrev_i32_e32 v10, 31, v29
	v_mov_b32_e32 v9, v29
	v_lshlrev_b64 v[9:10], 1, v[9:10]
	v_ashrrev_i32_e32 v24, 31, v30
	v_mov_b32_e32 v23, v30
	v_add_co_u32_e32 v9, vcc, v14, v9
	v_lshlrev_b64 v[23:24], 1, v[23:24]
	v_addc_co_u32_e32 v10, vcc, v15, v10, vcc
	v_add_co_u32_e32 v23, vcc, v14, v23
	v_addc_co_u32_e32 v24, vcc, v15, v24, vcc
	global_load_dword v26, v[9:10], off
	global_load_dword v27, v[23:24], off
	ds_read2_b32 v[9:10], v16 offset1:3
	ds_read2_b32 v[23:24], v16 offset0:6 offset1:9
	s_waitcnt vmcnt(7) lgkmcnt(1)
	v_dot2_f32_f16 v9, v9, v35, v22
	ds_read_u16 v22, v16 offset:6
	ds_read_u16 v28, v16 offset:8
	;; [unrolled: 1-line block ×8, first 2 shown]
	s_waitcnt vmcnt(6) lgkmcnt(7)
	v_fma_mix_f32 v9, v22, v36, v9 op_sel_hi:[1,1,0]
	s_waitcnt lgkmcnt(6)
	v_fma_mix_f32 v9, v28, v36, v9 op_sel:[0,1,0] op_sel_hi:[1,1,0]
	s_waitcnt vmcnt(5)
	v_dot2_f32_f16 v9, v10, v37, v9
	s_waitcnt vmcnt(4) lgkmcnt(5)
	v_fma_mix_f32 v9, v29, v38, v9 op_sel_hi:[1,1,0]
	s_waitcnt lgkmcnt(4)
	v_fma_mix_f32 v9, v30, v38, v9 op_sel:[0,1,0] op_sel_hi:[1,1,0]
	s_waitcnt vmcnt(3)
	v_dot2_f32_f16 v9, v23, v39, v9
	;; [unrolled: 6-line block ×3, first 2 shown]
	s_waitcnt vmcnt(0) lgkmcnt(1)
	v_fma_mix_f32 v9, v33, v27, v9 op_sel_hi:[1,1,0]
	s_waitcnt lgkmcnt(0)
	v_fma_mix_f32 v22, v34, v27, v9 op_sel:[0,1,0] op_sel_hi:[1,1,0]
	s_branch .LBB12_10
.LBB12_15:                              ;   in Loop: Header=BB12_8 Depth=1
	s_or_b64 exec, exec, s[18:19]
.LBB12_16:                              ;   in Loop: Header=BB12_8 Depth=1
	s_or_b64 exec, exec, s[14:15]
	s_and_saveexec_b64 s[14:15], s[0:1]
	s_cbranch_execz .LBB12_7
; %bb.17:                               ;   in Loop: Header=BB12_8 Depth=1
	v_mul_f32_e32 v0, s28, v22
	s_mov_b64 s[18:19], -1
	s_and_b64 vcc, exec, s[4:5]
	s_cbranch_vccz .LBB12_23
; %bb.18:                               ;   in Loop: Header=BB12_8 Depth=1
	s_and_b64 vcc, exec, s[6:7]
	s_cbranch_vccz .LBB12_20
; %bb.19:                               ;   in Loop: Header=BB12_8 Depth=1
	global_load_dword v3, v[4:5], off
	s_mov_b64 s[18:19], 0
	s_waitcnt vmcnt(0)
	v_fma_f32 v3, s30, v3, v0
	global_store_dword v[4:5], v3, off
.LBB12_20:                              ;   in Loop: Header=BB12_8 Depth=1
	s_andn2_b64 vcc, exec, s[18:19]
	s_cbranch_vccnz .LBB12_22
; %bb.21:                               ;   in Loop: Header=BB12_8 Depth=1
	global_load_dword v3, v[6:7], off
	s_waitcnt vmcnt(0)
	v_fma_f32 v3, s30, v3, v0
	global_store_dword v[6:7], v3, off
.LBB12_22:                              ;   in Loop: Header=BB12_8 Depth=1
	s_mov_b64 s[18:19], 0
.LBB12_23:                              ;   in Loop: Header=BB12_8 Depth=1
	s_andn2_b64 vcc, exec, s[18:19]
	s_cbranch_vccnz .LBB12_7
; %bb.24:                               ;   in Loop: Header=BB12_8 Depth=1
	s_mov_b64 s[18:19], -1
	s_and_b64 vcc, exec, s[6:7]
	s_cbranch_vccz .LBB12_26
; %bb.25:                               ;   in Loop: Header=BB12_8 Depth=1
	global_store_dword v[4:5], v0, off
	s_mov_b64 s[18:19], 0
.LBB12_26:                              ;   in Loop: Header=BB12_8 Depth=1
	s_andn2_b64 vcc, exec, s[18:19]
	s_cbranch_vccnz .LBB12_7
; %bb.27:                               ;   in Loop: Header=BB12_8 Depth=1
	global_store_dword v[6:7], v0, off
	s_branch .LBB12_7
.LBB12_28:
	s_endpgm
	.section	.rodata,"a",@progbits
	.p2align	6, 0x0
	.amdhsa_kernel _ZN9rocsparseL29bsrmmnn_small_blockdim_kernelILj64ELj8ELj2EiiDF16_DF16_ffEEv20rocsparse_direction_T3_S2_llNS_24const_host_device_scalarIT7_EEPKT2_PKS2_PKT4_PKT5_llS5_PT6_ll16rocsparse_order_21rocsparse_index_base_b
		.amdhsa_group_segment_fixed_size 640
		.amdhsa_private_segment_fixed_size 0
		.amdhsa_kernarg_size 392
		.amdhsa_user_sgpr_count 6
		.amdhsa_user_sgpr_private_segment_buffer 1
		.amdhsa_user_sgpr_dispatch_ptr 0
		.amdhsa_user_sgpr_queue_ptr 0
		.amdhsa_user_sgpr_kernarg_segment_ptr 1
		.amdhsa_user_sgpr_dispatch_id 0
		.amdhsa_user_sgpr_flat_scratch_init 0
		.amdhsa_user_sgpr_private_segment_size 0
		.amdhsa_uses_dynamic_stack 0
		.amdhsa_system_sgpr_private_segment_wavefront_offset 0
		.amdhsa_system_sgpr_workgroup_id_x 1
		.amdhsa_system_sgpr_workgroup_id_y 1
		.amdhsa_system_sgpr_workgroup_id_z 0
		.amdhsa_system_sgpr_workgroup_info 0
		.amdhsa_system_vgpr_workitem_id 0
		.amdhsa_next_free_vgpr 40
		.amdhsa_next_free_sgpr 32
		.amdhsa_reserve_vcc 1
		.amdhsa_reserve_flat_scratch 0
		.amdhsa_float_round_mode_32 0
		.amdhsa_float_round_mode_16_64 0
		.amdhsa_float_denorm_mode_32 3
		.amdhsa_float_denorm_mode_16_64 3
		.amdhsa_dx10_clamp 1
		.amdhsa_ieee_mode 1
		.amdhsa_fp16_overflow 0
		.amdhsa_exception_fp_ieee_invalid_op 0
		.amdhsa_exception_fp_denorm_src 0
		.amdhsa_exception_fp_ieee_div_zero 0
		.amdhsa_exception_fp_ieee_overflow 0
		.amdhsa_exception_fp_ieee_underflow 0
		.amdhsa_exception_fp_ieee_inexact 0
		.amdhsa_exception_int_div_zero 0
	.end_amdhsa_kernel
	.section	.text._ZN9rocsparseL29bsrmmnn_small_blockdim_kernelILj64ELj8ELj2EiiDF16_DF16_ffEEv20rocsparse_direction_T3_S2_llNS_24const_host_device_scalarIT7_EEPKT2_PKS2_PKT4_PKT5_llS5_PT6_ll16rocsparse_order_21rocsparse_index_base_b,"axG",@progbits,_ZN9rocsparseL29bsrmmnn_small_blockdim_kernelILj64ELj8ELj2EiiDF16_DF16_ffEEv20rocsparse_direction_T3_S2_llNS_24const_host_device_scalarIT7_EEPKT2_PKS2_PKT4_PKT5_llS5_PT6_ll16rocsparse_order_21rocsparse_index_base_b,comdat
.Lfunc_end12:
	.size	_ZN9rocsparseL29bsrmmnn_small_blockdim_kernelILj64ELj8ELj2EiiDF16_DF16_ffEEv20rocsparse_direction_T3_S2_llNS_24const_host_device_scalarIT7_EEPKT2_PKS2_PKT4_PKT5_llS5_PT6_ll16rocsparse_order_21rocsparse_index_base_b, .Lfunc_end12-_ZN9rocsparseL29bsrmmnn_small_blockdim_kernelILj64ELj8ELj2EiiDF16_DF16_ffEEv20rocsparse_direction_T3_S2_llNS_24const_host_device_scalarIT7_EEPKT2_PKS2_PKT4_PKT5_llS5_PT6_ll16rocsparse_order_21rocsparse_index_base_b
                                        ; -- End function
	.set _ZN9rocsparseL29bsrmmnn_small_blockdim_kernelILj64ELj8ELj2EiiDF16_DF16_ffEEv20rocsparse_direction_T3_S2_llNS_24const_host_device_scalarIT7_EEPKT2_PKS2_PKT4_PKT5_llS5_PT6_ll16rocsparse_order_21rocsparse_index_base_b.num_vgpr, 40
	.set _ZN9rocsparseL29bsrmmnn_small_blockdim_kernelILj64ELj8ELj2EiiDF16_DF16_ffEEv20rocsparse_direction_T3_S2_llNS_24const_host_device_scalarIT7_EEPKT2_PKS2_PKT4_PKT5_llS5_PT6_ll16rocsparse_order_21rocsparse_index_base_b.num_agpr, 0
	.set _ZN9rocsparseL29bsrmmnn_small_blockdim_kernelILj64ELj8ELj2EiiDF16_DF16_ffEEv20rocsparse_direction_T3_S2_llNS_24const_host_device_scalarIT7_EEPKT2_PKS2_PKT4_PKT5_llS5_PT6_ll16rocsparse_order_21rocsparse_index_base_b.numbered_sgpr, 32
	.set _ZN9rocsparseL29bsrmmnn_small_blockdim_kernelILj64ELj8ELj2EiiDF16_DF16_ffEEv20rocsparse_direction_T3_S2_llNS_24const_host_device_scalarIT7_EEPKT2_PKS2_PKT4_PKT5_llS5_PT6_ll16rocsparse_order_21rocsparse_index_base_b.num_named_barrier, 0
	.set _ZN9rocsparseL29bsrmmnn_small_blockdim_kernelILj64ELj8ELj2EiiDF16_DF16_ffEEv20rocsparse_direction_T3_S2_llNS_24const_host_device_scalarIT7_EEPKT2_PKS2_PKT4_PKT5_llS5_PT6_ll16rocsparse_order_21rocsparse_index_base_b.private_seg_size, 0
	.set _ZN9rocsparseL29bsrmmnn_small_blockdim_kernelILj64ELj8ELj2EiiDF16_DF16_ffEEv20rocsparse_direction_T3_S2_llNS_24const_host_device_scalarIT7_EEPKT2_PKS2_PKT4_PKT5_llS5_PT6_ll16rocsparse_order_21rocsparse_index_base_b.uses_vcc, 1
	.set _ZN9rocsparseL29bsrmmnn_small_blockdim_kernelILj64ELj8ELj2EiiDF16_DF16_ffEEv20rocsparse_direction_T3_S2_llNS_24const_host_device_scalarIT7_EEPKT2_PKS2_PKT4_PKT5_llS5_PT6_ll16rocsparse_order_21rocsparse_index_base_b.uses_flat_scratch, 0
	.set _ZN9rocsparseL29bsrmmnn_small_blockdim_kernelILj64ELj8ELj2EiiDF16_DF16_ffEEv20rocsparse_direction_T3_S2_llNS_24const_host_device_scalarIT7_EEPKT2_PKS2_PKT4_PKT5_llS5_PT6_ll16rocsparse_order_21rocsparse_index_base_b.has_dyn_sized_stack, 0
	.set _ZN9rocsparseL29bsrmmnn_small_blockdim_kernelILj64ELj8ELj2EiiDF16_DF16_ffEEv20rocsparse_direction_T3_S2_llNS_24const_host_device_scalarIT7_EEPKT2_PKS2_PKT4_PKT5_llS5_PT6_ll16rocsparse_order_21rocsparse_index_base_b.has_recursion, 0
	.set _ZN9rocsparseL29bsrmmnn_small_blockdim_kernelILj64ELj8ELj2EiiDF16_DF16_ffEEv20rocsparse_direction_T3_S2_llNS_24const_host_device_scalarIT7_EEPKT2_PKS2_PKT4_PKT5_llS5_PT6_ll16rocsparse_order_21rocsparse_index_base_b.has_indirect_call, 0
	.section	.AMDGPU.csdata,"",@progbits
; Kernel info:
; codeLenInByte = 1572
; TotalNumSgprs: 36
; NumVgprs: 40
; ScratchSize: 0
; MemoryBound: 0
; FloatMode: 240
; IeeeMode: 1
; LDSByteSize: 640 bytes/workgroup (compile time only)
; SGPRBlocks: 4
; VGPRBlocks: 9
; NumSGPRsForWavesPerEU: 36
; NumVGPRsForWavesPerEU: 40
; Occupancy: 6
; WaveLimiterHint : 0
; COMPUTE_PGM_RSRC2:SCRATCH_EN: 0
; COMPUTE_PGM_RSRC2:USER_SGPR: 6
; COMPUTE_PGM_RSRC2:TRAP_HANDLER: 0
; COMPUTE_PGM_RSRC2:TGID_X_EN: 1
; COMPUTE_PGM_RSRC2:TGID_Y_EN: 1
; COMPUTE_PGM_RSRC2:TGID_Z_EN: 0
; COMPUTE_PGM_RSRC2:TIDIG_COMP_CNT: 0
	.section	.text._ZN9rocsparseL29bsrmmnn_small_blockdim_kernelILj64ELj8ELj2EliDF16_DF16_ffEEv20rocsparse_direction_T3_S2_llNS_24const_host_device_scalarIT7_EEPKT2_PKS2_PKT4_PKT5_llS5_PT6_ll16rocsparse_order_21rocsparse_index_base_b,"axG",@progbits,_ZN9rocsparseL29bsrmmnn_small_blockdim_kernelILj64ELj8ELj2EliDF16_DF16_ffEEv20rocsparse_direction_T3_S2_llNS_24const_host_device_scalarIT7_EEPKT2_PKS2_PKT4_PKT5_llS5_PT6_ll16rocsparse_order_21rocsparse_index_base_b,comdat
	.globl	_ZN9rocsparseL29bsrmmnn_small_blockdim_kernelILj64ELj8ELj2EliDF16_DF16_ffEEv20rocsparse_direction_T3_S2_llNS_24const_host_device_scalarIT7_EEPKT2_PKS2_PKT4_PKT5_llS5_PT6_ll16rocsparse_order_21rocsparse_index_base_b ; -- Begin function _ZN9rocsparseL29bsrmmnn_small_blockdim_kernelILj64ELj8ELj2EliDF16_DF16_ffEEv20rocsparse_direction_T3_S2_llNS_24const_host_device_scalarIT7_EEPKT2_PKS2_PKT4_PKT5_llS5_PT6_ll16rocsparse_order_21rocsparse_index_base_b
	.p2align	8
	.type	_ZN9rocsparseL29bsrmmnn_small_blockdim_kernelILj64ELj8ELj2EliDF16_DF16_ffEEv20rocsparse_direction_T3_S2_llNS_24const_host_device_scalarIT7_EEPKT2_PKS2_PKT4_PKT5_llS5_PT6_ll16rocsparse_order_21rocsparse_index_base_b,@function
_ZN9rocsparseL29bsrmmnn_small_blockdim_kernelILj64ELj8ELj2EliDF16_DF16_ffEEv20rocsparse_direction_T3_S2_llNS_24const_host_device_scalarIT7_EEPKT2_PKS2_PKT4_PKT5_llS5_PT6_ll16rocsparse_order_21rocsparse_index_base_b: ; @_ZN9rocsparseL29bsrmmnn_small_blockdim_kernelILj64ELj8ELj2EliDF16_DF16_ffEEv20rocsparse_direction_T3_S2_llNS_24const_host_device_scalarIT7_EEPKT2_PKS2_PKT4_PKT5_llS5_PT6_ll16rocsparse_order_21rocsparse_index_base_b
; %bb.0:
	s_load_dwordx4 s[16:19], s[4:5], 0x78
	s_load_dwordx2 s[28:29], s[4:5], 0x20
	s_load_dwordx2 s[30:31], s[4:5], 0x58
	s_waitcnt lgkmcnt(0)
	s_bitcmp1_b32 s18, 0
	s_cselect_b64 s[2:3], -1, 0
	s_xor_b64 s[0:1], s[2:3], -1
	s_and_b64 vcc, exec, s[2:3]
	s_cbranch_vccnz .LBB13_2
; %bb.1:
	s_load_dword s28, s[28:29], 0x0
.LBB13_2:
	s_andn2_b64 vcc, exec, s[0:1]
	s_cbranch_vccnz .LBB13_4
; %bb.3:
	s_load_dword s30, s[30:31], 0x0
.LBB13_4:
	s_waitcnt lgkmcnt(0)
	v_cmp_eq_f32_e64 s[0:1], s28, 0
	v_cmp_eq_f32_e64 s[2:3], s30, 1.0
	s_and_b64 s[0:1], s[0:1], s[2:3]
	s_and_b64 vcc, exec, s[0:1]
	s_cbranch_vccnz .LBB13_28
; %bb.5:
	s_load_dword s0, s[4:5], 0x88
	s_load_dwordx4 s[20:23], s[4:5], 0x0
	s_add_u32 s1, s4, 0x88
	s_addc_u32 s3, s5, 0
	v_mov_b32_e32 v5, 0
	s_waitcnt lgkmcnt(0)
	s_cmp_lt_u32 s6, s0
	s_cselect_b32 s2, 12, 18
	s_add_u32 s2, s1, s2
	s_addc_u32 s3, s3, 0
	global_load_ushort v2, v5, s[2:3]
	s_waitcnt vmcnt(0)
	v_mul_lo_u32 v1, s6, v2
	v_add_u32_e32 v1, v1, v0
	v_lshrrev_b32_e32 v4, 4, v1
	v_cmp_gt_i32_e32 vcc, s21, v4
	s_and_saveexec_b64 s[2:3], vcc
	s_cbranch_execz .LBB13_28
; %bb.6:
	v_mul_lo_u32 v2, s0, v2
	s_load_dwordx8 s[8:15], s[4:5], 0x28
	s_load_dwordx4 s[24:27], s[4:5], 0x60
	s_load_dwordx2 s[0:1], s[4:5], 0x48
	v_and_b32_e32 v15, 7, v1
	v_lshrrev_b32_e32 v21, 3, v1
	v_lshrrev_b32_e32 v14, 4, v2
	v_lshl_or_b32 v2, s7, 3, v15
	v_ashrrev_i32_e32 v3, 31, v2
	s_waitcnt lgkmcnt(0)
	v_mul_lo_u32 v11, s0, v3
	v_mul_lo_u32 v12, s1, v2
	v_mad_u64_u32 v[8:9], s[0:1], s0, v2, 0
	v_bfe_u32 v22, v1, 3, 1
	v_lshrrev_b32_e32 v0, 3, v0
	v_mov_b32_e32 v1, 0x180
	v_lshl_add_u32 v16, v0, 5, v1
	v_mul_u32_u24_e32 v18, 48, v0
	v_mad_u64_u32 v[0:1], s[0:1], s26, v21, 0
	v_lshlrev_b64 v[6:7], 2, v[2:3]
	v_mov_b32_e32 v10, s25
	v_add_co_u32_e32 v13, vcc, s24, v6
	v_add3_u32 v9, v9, v11, v12
	v_addc_co_u32_e32 v10, vcc, v10, v7, vcc
	v_lshlrev_b64 v[6:7], 1, v[8:9]
	v_mad_u64_u32 v[8:9], s[2:3], s27, v21, v[1:2]
	v_cmp_gt_i32_e64 s[0:1], s22, v2
	v_mul_lo_u32 v9, s27, v2
	v_mov_b32_e32 v1, v8
	v_mul_lo_u32 v8, s26, v3
	v_mad_u64_u32 v[2:3], s[2:3], s26, v2, 0
	v_mov_b32_e32 v12, s15
	v_add_co_u32_e32 v19, vcc, s14, v6
	v_lshlrev_b64 v[0:1], 2, v[0:1]
	v_addc_co_u32_e32 v20, vcc, v12, v7, vcc
	v_add_co_u32_e32 v6, vcc, v13, v0
	v_add3_u32 v3, v3, v8, v9
	v_addc_co_u32_e32 v7, vcc, v10, v1, vcc
	v_lshlrev_b64 v[0:1], 2, v[2:3]
	s_cmp_lg_u32 s16, 1
	s_cselect_b64 s[4:5], -1, 0
	s_cmp_eq_u32 s20, 0
	v_mov_b32_e32 v2, s25
	v_add_co_u32_e32 v0, vcc, s24, v0
	v_addc_co_u32_e32 v1, vcc, v2, v1, vcc
	v_lshlrev_b32_e32 v2, 2, v21
	s_cselect_b64 s[2:3], -1, 0
	v_add_co_u32_e32 v8, vcc, v0, v2
	v_cndmask_b32_e64 v0, 0, 1, s[2:3]
	v_addc_co_u32_e32 v9, vcc, 0, v1, vcc
	v_lshlrev_b32_e32 v0, v0, v22
	v_subrev_co_u32_e32 v21, vcc, s17, v15
	v_lshlrev_b32_e32 v0, 1, v0
	v_mul_u32_u24_e32 v11, 6, v15
	s_and_b64 s[2:3], s[2:3], exec
	v_subb_co_u32_e64 v22, s[2:3], 0, 0, vcc
	v_mov_b32_e32 v1, s13
	v_add_co_u32_e32 v23, vcc, s12, v0
	s_mov_b32 s23, s17
	v_lshl_or_b32 v17, v15, 2, v16
	v_cmp_neq_f32_e64 s[6:7], s30, 0
	s_cselect_b32 s16, 2, 4
	v_addc_co_u32_e32 v24, vcc, 0, v1, vcc
	s_mov_b64 s[12:13], 0
	v_add_u32_e32 v25, v18, v11
	s_branch .LBB13_8
.LBB13_7:                               ;   in Loop: Header=BB13_8 Depth=1
	s_or_b64 exec, exec, s[2:3]
	v_add_u32_e32 v4, v4, v14
	v_cmp_le_i32_e32 vcc, s21, v4
	s_or_b64 s[12:13], vcc, s[12:13]
	s_andn2_b64 exec, exec, s[12:13]
	s_cbranch_execz .LBB13_28
.LBB13_8:                               ; =>This Loop Header: Depth=1
                                        ;     Child Loop BB13_11 Depth 2
	v_lshlrev_b64 v[0:1], 3, v[4:5]
	v_mov_b32_e32 v2, s9
	v_add_co_u32_e32 v0, vcc, s8, v0
	v_addc_co_u32_e32 v1, vcc, v2, v1, vcc
	global_load_dwordx4 v[0:3], v[0:1], off
	v_mov_b32_e32 v26, 0
	s_waitcnt vmcnt(0)
	v_cmp_lt_i64_e32 vcc, v[0:1], v[2:3]
	s_and_saveexec_b64 s[14:15], vcc
	s_cbranch_execz .LBB13_16
; %bb.9:                                ;   in Loop: Header=BB13_8 Depth=1
	v_subrev_co_u32_e32 v2, vcc, s23, v2
	v_subbrev_co_u32_e32 v3, vcc, 0, v3, vcc
	v_subrev_co_u32_e32 v10, vcc, s23, v0
	v_subbrev_co_u32_e32 v11, vcc, 0, v1, vcc
	v_add_co_u32_e32 v12, vcc, v21, v0
	v_addc_co_u32_e32 v13, vcc, v22, v1, vcc
	v_lshlrev_b64 v[0:1], 2, v[12:13]
	v_mov_b32_e32 v26, s11
	v_add_co_u32_e32 v0, vcc, s10, v0
	v_lshlrev_b64 v[12:13], 3, v[12:13]
	v_addc_co_u32_e32 v1, vcc, v26, v1, vcc
	v_add_co_u32_e32 v12, vcc, v23, v12
	v_addc_co_u32_e32 v13, vcc, v24, v13, vcc
	v_mov_b32_e32 v26, 0
	s_mov_b64 s[18:19], 0
	s_branch .LBB13_11
.LBB13_10:                              ;   in Loop: Header=BB13_11 Depth=2
	s_or_b64 exec, exec, s[2:3]
	v_add_co_u32_e32 v10, vcc, 8, v10
	v_addc_co_u32_e32 v11, vcc, 0, v11, vcc
	v_cmp_ge_i64_e32 vcc, v[10:11], v[2:3]
	v_add_co_u32_e64 v0, s[2:3], 32, v0
	s_or_b64 s[18:19], vcc, s[18:19]
	v_add_co_u32_e32 v12, vcc, 64, v12
	v_addc_co_u32_e64 v1, s[2:3], 0, v1, s[2:3]
	v_addc_co_u32_e32 v13, vcc, 0, v13, vcc
	s_andn2_b64 exec, exec, s[18:19]
	s_cbranch_execz .LBB13_15
.LBB13_11:                              ;   Parent Loop BB13_8 Depth=1
                                        ; =>  This Inner Loop Header: Depth=2
	v_add_co_u32_e32 v27, vcc, v15, v10
	v_addc_co_u32_e32 v28, vcc, 0, v11, vcc
	v_cmp_lt_i64_e32 vcc, v[27:28], v[2:3]
	v_mov_b32_e32 v29, 0
	v_mov_b32_e32 v27, 0
	;; [unrolled: 1-line block ×3, first 2 shown]
	s_and_saveexec_b64 s[2:3], vcc
	s_cbranch_execz .LBB13_13
; %bb.12:                               ;   in Loop: Header=BB13_11 Depth=2
	global_load_dword v31, v[0:1], off
	v_add_co_u32_e32 v29, vcc, s16, v12
	v_addc_co_u32_e32 v30, vcc, 0, v13, vcc
	global_load_ushort v27, v[12:13], off
	global_load_ushort v28, v[29:30], off
	s_waitcnt vmcnt(2)
	v_subrev_u32_e32 v29, s17, v31
	v_lshlrev_b32_e32 v29, 1, v29
.LBB13_13:                              ;   in Loop: Header=BB13_11 Depth=2
	s_or_b64 exec, exec, s[2:3]
	ds_write_b32 v17, v29
	s_waitcnt vmcnt(1)
	ds_write_b16 v25, v27
	s_waitcnt vmcnt(0)
	ds_write_b16 v25, v28 offset:2
	s_waitcnt lgkmcnt(0)
	; wave barrier
	s_and_saveexec_b64 s[2:3], s[0:1]
	s_cbranch_execz .LBB13_10
; %bb.14:                               ;   in Loop: Header=BB13_11 Depth=2
	ds_read_b128 v[27:30], v16
	ds_read_b128 v[31:34], v16 offset:16
	s_waitcnt lgkmcnt(1)
	v_ashrrev_i32_e32 v36, 31, v27
	v_mov_b32_e32 v35, v27
	v_lshlrev_b64 v[35:36], 1, v[35:36]
	v_ashrrev_i32_e32 v37, 31, v28
	v_add_co_u32_e32 v38, vcc, v19, v35
	v_addc_co_u32_e32 v39, vcc, v20, v36, vcc
	v_mov_b32_e32 v36, v28
	v_lshlrev_b64 v[27:28], 1, v[36:37]
	v_ashrrev_i32_e32 v36, 31, v29
	v_mov_b32_e32 v35, v29
	v_add_co_u32_e32 v27, vcc, v19, v27
	v_lshlrev_b64 v[35:36], 1, v[35:36]
	v_addc_co_u32_e32 v28, vcc, v20, v28, vcc
	v_ashrrev_i32_e32 v41, 31, v30
	v_mov_b32_e32 v40, v30
	v_add_co_u32_e32 v35, vcc, v19, v35
	v_lshlrev_b64 v[29:30], 1, v[40:41]
	v_addc_co_u32_e32 v36, vcc, v20, v36, vcc
	s_waitcnt lgkmcnt(0)
	v_ashrrev_i32_e32 v41, 31, v31
	v_mov_b32_e32 v40, v31
	v_add_co_u32_e32 v29, vcc, v19, v29
	v_lshlrev_b64 v[40:41], 1, v[40:41]
	v_addc_co_u32_e32 v30, vcc, v20, v30, vcc
	v_ashrrev_i32_e32 v43, 31, v32
	v_mov_b32_e32 v42, v32
	v_add_co_u32_e32 v40, vcc, v19, v40
	v_lshlrev_b64 v[31:32], 1, v[42:43]
	v_addc_co_u32_e32 v41, vcc, v20, v41, vcc
	v_add_co_u32_e32 v31, vcc, v19, v31
	v_addc_co_u32_e32 v32, vcc, v20, v32, vcc
	global_load_dword v37, v[38:39], off
	global_load_dword v42, v[27:28], off
	global_load_dword v43, v[35:36], off
	global_load_dword v44, v[29:30], off
	global_load_dword v45, v[40:41], off
	global_load_dword v46, v[31:32], off
	v_ashrrev_i32_e32 v28, 31, v33
	v_mov_b32_e32 v27, v33
	v_lshlrev_b64 v[27:28], 1, v[27:28]
	v_ashrrev_i32_e32 v30, 31, v34
	v_mov_b32_e32 v29, v34
	v_add_co_u32_e32 v27, vcc, v19, v27
	v_lshlrev_b64 v[29:30], 1, v[29:30]
	v_addc_co_u32_e32 v28, vcc, v20, v28, vcc
	v_add_co_u32_e32 v29, vcc, v19, v29
	v_addc_co_u32_e32 v30, vcc, v20, v30, vcc
	global_load_dword v31, v[27:28], off
	global_load_dword v32, v[29:30], off
	ds_read2_b32 v[27:28], v18 offset1:3
	ds_read2_b32 v[29:30], v18 offset0:6 offset1:9
	ds_read_u16 v33, v18 offset:6
	ds_read_u16 v34, v18 offset:8
	ds_read_u16 v35, v18 offset:18
	ds_read_u16 v36, v18 offset:20
	ds_read_u16 v38, v18 offset:30
	ds_read_u16 v39, v18 offset:32
	ds_read_u16 v40, v18 offset:42
	ds_read_u16 v41, v18 offset:44
	s_waitcnt vmcnt(7) lgkmcnt(9)
	v_dot2_f32_f16 v26, v27, v37, v26
	s_waitcnt vmcnt(6) lgkmcnt(7)
	v_fma_mix_f32 v26, v33, v42, v26 op_sel_hi:[1,1,0]
	s_waitcnt lgkmcnt(6)
	v_fma_mix_f32 v26, v34, v42, v26 op_sel:[0,1,0] op_sel_hi:[1,1,0]
	s_waitcnt vmcnt(5)
	v_dot2_f32_f16 v26, v28, v43, v26
	s_waitcnt vmcnt(4) lgkmcnt(5)
	v_fma_mix_f32 v26, v35, v44, v26 op_sel_hi:[1,1,0]
	s_waitcnt lgkmcnt(4)
	v_fma_mix_f32 v26, v36, v44, v26 op_sel:[0,1,0] op_sel_hi:[1,1,0]
	s_waitcnt vmcnt(3)
	;; [unrolled: 6-line block ×3, first 2 shown]
	v_dot2_f32_f16 v26, v30, v31, v26
	s_waitcnt vmcnt(0) lgkmcnt(1)
	v_fma_mix_f32 v26, v40, v32, v26 op_sel_hi:[1,1,0]
	s_waitcnt lgkmcnt(0)
	v_fma_mix_f32 v26, v41, v32, v26 op_sel:[0,1,0] op_sel_hi:[1,1,0]
	s_branch .LBB13_10
.LBB13_15:                              ;   in Loop: Header=BB13_8 Depth=1
	s_or_b64 exec, exec, s[18:19]
.LBB13_16:                              ;   in Loop: Header=BB13_8 Depth=1
	s_or_b64 exec, exec, s[14:15]
	s_and_saveexec_b64 s[2:3], s[0:1]
	s_cbranch_execz .LBB13_7
; %bb.17:                               ;   in Loop: Header=BB13_8 Depth=1
	v_mul_f32_e32 v0, s28, v26
	s_mov_b64 s[14:15], -1
	s_and_b64 vcc, exec, s[6:7]
	s_cbranch_vccz .LBB13_23
; %bb.18:                               ;   in Loop: Header=BB13_8 Depth=1
	s_and_b64 vcc, exec, s[4:5]
	s_cbranch_vccz .LBB13_20
; %bb.19:                               ;   in Loop: Header=BB13_8 Depth=1
	global_load_dword v1, v[6:7], off
	s_mov_b64 s[14:15], 0
	s_waitcnt vmcnt(0)
	v_fma_f32 v1, s30, v1, v0
	global_store_dword v[6:7], v1, off
.LBB13_20:                              ;   in Loop: Header=BB13_8 Depth=1
	s_andn2_b64 vcc, exec, s[14:15]
	s_cbranch_vccnz .LBB13_22
; %bb.21:                               ;   in Loop: Header=BB13_8 Depth=1
	global_load_dword v1, v[8:9], off
	s_waitcnt vmcnt(0)
	v_fma_f32 v1, s30, v1, v0
	global_store_dword v[8:9], v1, off
.LBB13_22:                              ;   in Loop: Header=BB13_8 Depth=1
	s_mov_b64 s[14:15], 0
.LBB13_23:                              ;   in Loop: Header=BB13_8 Depth=1
	s_andn2_b64 vcc, exec, s[14:15]
	s_cbranch_vccnz .LBB13_7
; %bb.24:                               ;   in Loop: Header=BB13_8 Depth=1
	s_mov_b64 s[14:15], -1
	s_and_b64 vcc, exec, s[4:5]
	s_cbranch_vccz .LBB13_26
; %bb.25:                               ;   in Loop: Header=BB13_8 Depth=1
	global_store_dword v[6:7], v0, off
	s_mov_b64 s[14:15], 0
.LBB13_26:                              ;   in Loop: Header=BB13_8 Depth=1
	s_andn2_b64 vcc, exec, s[14:15]
	s_cbranch_vccnz .LBB13_7
; %bb.27:                               ;   in Loop: Header=BB13_8 Depth=1
	global_store_dword v[8:9], v0, off
	s_branch .LBB13_7
.LBB13_28:
	s_endpgm
	.section	.rodata,"a",@progbits
	.p2align	6, 0x0
	.amdhsa_kernel _ZN9rocsparseL29bsrmmnn_small_blockdim_kernelILj64ELj8ELj2EliDF16_DF16_ffEEv20rocsparse_direction_T3_S2_llNS_24const_host_device_scalarIT7_EEPKT2_PKS2_PKT4_PKT5_llS5_PT6_ll16rocsparse_order_21rocsparse_index_base_b
		.amdhsa_group_segment_fixed_size 640
		.amdhsa_private_segment_fixed_size 0
		.amdhsa_kernarg_size 392
		.amdhsa_user_sgpr_count 6
		.amdhsa_user_sgpr_private_segment_buffer 1
		.amdhsa_user_sgpr_dispatch_ptr 0
		.amdhsa_user_sgpr_queue_ptr 0
		.amdhsa_user_sgpr_kernarg_segment_ptr 1
		.amdhsa_user_sgpr_dispatch_id 0
		.amdhsa_user_sgpr_flat_scratch_init 0
		.amdhsa_user_sgpr_private_segment_size 0
		.amdhsa_uses_dynamic_stack 0
		.amdhsa_system_sgpr_private_segment_wavefront_offset 0
		.amdhsa_system_sgpr_workgroup_id_x 1
		.amdhsa_system_sgpr_workgroup_id_y 1
		.amdhsa_system_sgpr_workgroup_id_z 0
		.amdhsa_system_sgpr_workgroup_info 0
		.amdhsa_system_vgpr_workitem_id 0
		.amdhsa_next_free_vgpr 47
		.amdhsa_next_free_sgpr 32
		.amdhsa_reserve_vcc 1
		.amdhsa_reserve_flat_scratch 0
		.amdhsa_float_round_mode_32 0
		.amdhsa_float_round_mode_16_64 0
		.amdhsa_float_denorm_mode_32 3
		.amdhsa_float_denorm_mode_16_64 3
		.amdhsa_dx10_clamp 1
		.amdhsa_ieee_mode 1
		.amdhsa_fp16_overflow 0
		.amdhsa_exception_fp_ieee_invalid_op 0
		.amdhsa_exception_fp_denorm_src 0
		.amdhsa_exception_fp_ieee_div_zero 0
		.amdhsa_exception_fp_ieee_overflow 0
		.amdhsa_exception_fp_ieee_underflow 0
		.amdhsa_exception_fp_ieee_inexact 0
		.amdhsa_exception_int_div_zero 0
	.end_amdhsa_kernel
	.section	.text._ZN9rocsparseL29bsrmmnn_small_blockdim_kernelILj64ELj8ELj2EliDF16_DF16_ffEEv20rocsparse_direction_T3_S2_llNS_24const_host_device_scalarIT7_EEPKT2_PKS2_PKT4_PKT5_llS5_PT6_ll16rocsparse_order_21rocsparse_index_base_b,"axG",@progbits,_ZN9rocsparseL29bsrmmnn_small_blockdim_kernelILj64ELj8ELj2EliDF16_DF16_ffEEv20rocsparse_direction_T3_S2_llNS_24const_host_device_scalarIT7_EEPKT2_PKS2_PKT4_PKT5_llS5_PT6_ll16rocsparse_order_21rocsparse_index_base_b,comdat
.Lfunc_end13:
	.size	_ZN9rocsparseL29bsrmmnn_small_blockdim_kernelILj64ELj8ELj2EliDF16_DF16_ffEEv20rocsparse_direction_T3_S2_llNS_24const_host_device_scalarIT7_EEPKT2_PKS2_PKT4_PKT5_llS5_PT6_ll16rocsparse_order_21rocsparse_index_base_b, .Lfunc_end13-_ZN9rocsparseL29bsrmmnn_small_blockdim_kernelILj64ELj8ELj2EliDF16_DF16_ffEEv20rocsparse_direction_T3_S2_llNS_24const_host_device_scalarIT7_EEPKT2_PKS2_PKT4_PKT5_llS5_PT6_ll16rocsparse_order_21rocsparse_index_base_b
                                        ; -- End function
	.set _ZN9rocsparseL29bsrmmnn_small_blockdim_kernelILj64ELj8ELj2EliDF16_DF16_ffEEv20rocsparse_direction_T3_S2_llNS_24const_host_device_scalarIT7_EEPKT2_PKS2_PKT4_PKT5_llS5_PT6_ll16rocsparse_order_21rocsparse_index_base_b.num_vgpr, 47
	.set _ZN9rocsparseL29bsrmmnn_small_blockdim_kernelILj64ELj8ELj2EliDF16_DF16_ffEEv20rocsparse_direction_T3_S2_llNS_24const_host_device_scalarIT7_EEPKT2_PKS2_PKT4_PKT5_llS5_PT6_ll16rocsparse_order_21rocsparse_index_base_b.num_agpr, 0
	.set _ZN9rocsparseL29bsrmmnn_small_blockdim_kernelILj64ELj8ELj2EliDF16_DF16_ffEEv20rocsparse_direction_T3_S2_llNS_24const_host_device_scalarIT7_EEPKT2_PKS2_PKT4_PKT5_llS5_PT6_ll16rocsparse_order_21rocsparse_index_base_b.numbered_sgpr, 32
	.set _ZN9rocsparseL29bsrmmnn_small_blockdim_kernelILj64ELj8ELj2EliDF16_DF16_ffEEv20rocsparse_direction_T3_S2_llNS_24const_host_device_scalarIT7_EEPKT2_PKS2_PKT4_PKT5_llS5_PT6_ll16rocsparse_order_21rocsparse_index_base_b.num_named_barrier, 0
	.set _ZN9rocsparseL29bsrmmnn_small_blockdim_kernelILj64ELj8ELj2EliDF16_DF16_ffEEv20rocsparse_direction_T3_S2_llNS_24const_host_device_scalarIT7_EEPKT2_PKS2_PKT4_PKT5_llS5_PT6_ll16rocsparse_order_21rocsparse_index_base_b.private_seg_size, 0
	.set _ZN9rocsparseL29bsrmmnn_small_blockdim_kernelILj64ELj8ELj2EliDF16_DF16_ffEEv20rocsparse_direction_T3_S2_llNS_24const_host_device_scalarIT7_EEPKT2_PKS2_PKT4_PKT5_llS5_PT6_ll16rocsparse_order_21rocsparse_index_base_b.uses_vcc, 1
	.set _ZN9rocsparseL29bsrmmnn_small_blockdim_kernelILj64ELj8ELj2EliDF16_DF16_ffEEv20rocsparse_direction_T3_S2_llNS_24const_host_device_scalarIT7_EEPKT2_PKS2_PKT4_PKT5_llS5_PT6_ll16rocsparse_order_21rocsparse_index_base_b.uses_flat_scratch, 0
	.set _ZN9rocsparseL29bsrmmnn_small_blockdim_kernelILj64ELj8ELj2EliDF16_DF16_ffEEv20rocsparse_direction_T3_S2_llNS_24const_host_device_scalarIT7_EEPKT2_PKS2_PKT4_PKT5_llS5_PT6_ll16rocsparse_order_21rocsparse_index_base_b.has_dyn_sized_stack, 0
	.set _ZN9rocsparseL29bsrmmnn_small_blockdim_kernelILj64ELj8ELj2EliDF16_DF16_ffEEv20rocsparse_direction_T3_S2_llNS_24const_host_device_scalarIT7_EEPKT2_PKS2_PKT4_PKT5_llS5_PT6_ll16rocsparse_order_21rocsparse_index_base_b.has_recursion, 0
	.set _ZN9rocsparseL29bsrmmnn_small_blockdim_kernelILj64ELj8ELj2EliDF16_DF16_ffEEv20rocsparse_direction_T3_S2_llNS_24const_host_device_scalarIT7_EEPKT2_PKS2_PKT4_PKT5_llS5_PT6_ll16rocsparse_order_21rocsparse_index_base_b.has_indirect_call, 0
	.section	.AMDGPU.csdata,"",@progbits
; Kernel info:
; codeLenInByte = 1564
; TotalNumSgprs: 36
; NumVgprs: 47
; ScratchSize: 0
; MemoryBound: 0
; FloatMode: 240
; IeeeMode: 1
; LDSByteSize: 640 bytes/workgroup (compile time only)
; SGPRBlocks: 4
; VGPRBlocks: 11
; NumSGPRsForWavesPerEU: 36
; NumVGPRsForWavesPerEU: 47
; Occupancy: 5
; WaveLimiterHint : 0
; COMPUTE_PGM_RSRC2:SCRATCH_EN: 0
; COMPUTE_PGM_RSRC2:USER_SGPR: 6
; COMPUTE_PGM_RSRC2:TRAP_HANDLER: 0
; COMPUTE_PGM_RSRC2:TGID_X_EN: 1
; COMPUTE_PGM_RSRC2:TGID_Y_EN: 1
; COMPUTE_PGM_RSRC2:TGID_Z_EN: 0
; COMPUTE_PGM_RSRC2:TIDIG_COMP_CNT: 0
	.section	.text._ZN9rocsparseL29bsrmmnn_small_blockdim_kernelILj64ELj8ELj2EllDF16_DF16_ffEEv20rocsparse_direction_T3_S2_llNS_24const_host_device_scalarIT7_EEPKT2_PKS2_PKT4_PKT5_llS5_PT6_ll16rocsparse_order_21rocsparse_index_base_b,"axG",@progbits,_ZN9rocsparseL29bsrmmnn_small_blockdim_kernelILj64ELj8ELj2EllDF16_DF16_ffEEv20rocsparse_direction_T3_S2_llNS_24const_host_device_scalarIT7_EEPKT2_PKS2_PKT4_PKT5_llS5_PT6_ll16rocsparse_order_21rocsparse_index_base_b,comdat
	.globl	_ZN9rocsparseL29bsrmmnn_small_blockdim_kernelILj64ELj8ELj2EllDF16_DF16_ffEEv20rocsparse_direction_T3_S2_llNS_24const_host_device_scalarIT7_EEPKT2_PKS2_PKT4_PKT5_llS5_PT6_ll16rocsparse_order_21rocsparse_index_base_b ; -- Begin function _ZN9rocsparseL29bsrmmnn_small_blockdim_kernelILj64ELj8ELj2EllDF16_DF16_ffEEv20rocsparse_direction_T3_S2_llNS_24const_host_device_scalarIT7_EEPKT2_PKS2_PKT4_PKT5_llS5_PT6_ll16rocsparse_order_21rocsparse_index_base_b
	.p2align	8
	.type	_ZN9rocsparseL29bsrmmnn_small_blockdim_kernelILj64ELj8ELj2EllDF16_DF16_ffEEv20rocsparse_direction_T3_S2_llNS_24const_host_device_scalarIT7_EEPKT2_PKS2_PKT4_PKT5_llS5_PT6_ll16rocsparse_order_21rocsparse_index_base_b,@function
_ZN9rocsparseL29bsrmmnn_small_blockdim_kernelILj64ELj8ELj2EllDF16_DF16_ffEEv20rocsparse_direction_T3_S2_llNS_24const_host_device_scalarIT7_EEPKT2_PKS2_PKT4_PKT5_llS5_PT6_ll16rocsparse_order_21rocsparse_index_base_b: ; @_ZN9rocsparseL29bsrmmnn_small_blockdim_kernelILj64ELj8ELj2EllDF16_DF16_ffEEv20rocsparse_direction_T3_S2_llNS_24const_host_device_scalarIT7_EEPKT2_PKS2_PKT4_PKT5_llS5_PT6_ll16rocsparse_order_21rocsparse_index_base_b
; %bb.0:
	s_load_dwordx4 s[20:23], s[4:5], 0x80
	s_load_dwordx2 s[24:25], s[4:5], 0x28
	s_load_dwordx2 s[26:27], s[4:5], 0x60
	s_waitcnt lgkmcnt(0)
	s_bitcmp1_b32 s22, 0
	s_cselect_b64 s[2:3], -1, 0
	s_xor_b64 s[0:1], s[2:3], -1
	s_and_b64 vcc, exec, s[2:3]
	s_cbranch_vccnz .LBB14_2
; %bb.1:
	s_load_dword s24, s[24:25], 0x0
.LBB14_2:
	s_andn2_b64 vcc, exec, s[0:1]
	s_cbranch_vccnz .LBB14_4
; %bb.3:
	s_load_dword s26, s[26:27], 0x0
.LBB14_4:
	s_waitcnt lgkmcnt(0)
	v_cmp_eq_f32_e64 s[0:1], s24, 0
	v_cmp_eq_f32_e64 s[2:3], s26, 1.0
	s_and_b64 s[0:1], s[0:1], s[2:3]
	s_and_b64 vcc, exec, s[0:1]
	s_cbranch_vccnz .LBB14_28
; %bb.5:
	s_load_dword s22, s[4:5], 0x90
	s_load_dwordx4 s[16:19], s[4:5], 0x8
	s_add_u32 s0, s4, 0x90
	s_addc_u32 s1, s5, 0
	v_mov_b32_e32 v5, 0
	s_waitcnt lgkmcnt(0)
	s_cmp_lt_u32 s6, s22
	s_cselect_b32 s2, 12, 18
	s_add_u32 s0, s0, s2
	s_addc_u32 s1, s1, 0
	global_load_ushort v2, v5, s[0:1]
	s_waitcnt vmcnt(0)
	v_mul_lo_u32 v1, s6, v2
	v_add_u32_e32 v1, v1, v0
	v_lshrrev_b32_e32 v4, 4, v1
	v_cmp_gt_i64_e32 vcc, s[16:17], v[4:5]
	s_and_saveexec_b64 s[0:1], vcc
	s_cbranch_execz .LBB14_28
; %bb.6:
	s_load_dwordx2 s[28:29], s[4:5], 0x50
	s_load_dwordx4 s[0:3], s[4:5], 0x68
	v_and_b32_e32 v16, 7, v1
	v_lshl_or_b32 v10, s7, 3, v16
	v_mul_lo_u32 v6, s22, v2
	s_waitcnt lgkmcnt(0)
	v_mad_u64_u32 v[12:13], s[6:7], s28, v10, 0
	v_lshrrev_b32_e32 v9, 3, v1
	s_load_dwordx8 s[8:15], s[4:5], 0x30
	v_mov_b32_e32 v2, v13
	v_mad_u64_u32 v[2:3], s[6:7], s29, v10, v[2:3]
	s_load_dword s6, s[4:5], 0x0
	v_lshrrev_b32_e32 v17, 4, v6
	v_mad_u64_u32 v[6:7], s[4:5], v9, s2, 0
	v_mov_b32_e32 v11, v5
	v_mov_b32_e32 v13, v2
	v_lshlrev_b64 v[2:3], 2, v[10:11]
	v_mov_b32_e32 v8, s1
	v_add_co_u32_e32 v14, vcc, s0, v2
	v_lshrrev_b32_e32 v15, 3, v0
	v_mov_b32_e32 v0, v7
	v_addc_co_u32_e32 v8, vcc, v8, v3, vcc
	v_mad_u64_u32 v[2:3], s[4:5], v9, s3, v[0:1]
	v_lshrrev_b32_e32 v0, 2, v1
	v_and_b32_e32 v21, 2, v0
	v_mov_b32_e32 v7, v2
	v_mad_u64_u32 v[2:3], s[4:5], s2, v10, 0
	v_lshlrev_b64 v[0:1], 2, v[6:7]
	s_waitcnt lgkmcnt(0)
	v_mov_b32_e32 v18, s13
	v_add_co_u32_e32 v6, vcc, v14, v0
	v_mov_b32_e32 v0, v3
	v_addc_co_u32_e32 v7, vcc, v8, v1, vcc
	v_mad_u64_u32 v[0:1], s[2:3], s3, v10, v[0:1]
	v_add_co_u32_e32 v14, vcc, s12, v21
	v_addc_co_u32_e32 v22, vcc, 0, v18, vcc
	v_mov_b32_e32 v3, v0
	v_lshlrev_b32_e32 v0, 2, v9
	v_mov_b32_e32 v1, s1
	v_add_co_u32_e32 v8, vcc, s0, v0
	v_addc_co_u32_e32 v9, vcc, 0, v1, vcc
	v_lshlrev_b64 v[0:1], 2, v[2:3]
	s_cmp_lg_u32 s20, 1
	v_add_co_u32_e32 v8, vcc, v8, v0
	v_addc_co_u32_e32 v9, vcc, v9, v1, vcc
	v_mul_u32_u24_e32 v0, 48, v15
	v_or_b32_e32 v20, 0x200, v0
	v_add_co_u32_e32 v0, vcc, v14, v21
	s_cselect_b64 s[4:5], -1, 0
	s_cmp_eq_u32 s6, 0
	v_addc_co_u32_e32 v1, vcc, 0, v22, vcc
	s_cselect_b64 vcc, -1, 0
	v_cndmask_b32_e32 v21, v22, v1, vcc
	v_cndmask_b32_e32 v22, v14, v0, vcc
	v_lshlrev_b64 v[0:1], 1, v[12:13]
	s_and_b64 s[2:3], vcc, exec
	v_mov_b32_e32 v3, s15
	v_add_co_u32_e32 v23, vcc, s14, v0
	v_addc_co_u32_e32 v24, vcc, v3, v1, vcc
	v_lshlrev_b32_e32 v18, 6, v15
	v_mul_u32_u24_e32 v2, 6, v16
	v_cmp_gt_i64_e64 s[0:1], s[18:19], v[10:11]
	v_subrev_co_u32_e32 v25, vcc, s21, v16
	s_mov_b32 s22, s21
	v_lshl_or_b32 v19, v16, 3, v18
	v_cmp_neq_f32_e64 s[6:7], s26, 0
	s_cselect_b32 s20, 2, 4
	v_subb_co_u32_e64 v26, s[2:3], 0, 0, vcc
	s_mov_b64 s[12:13], 0
	v_add_u32_e32 v27, v20, v2
	s_branch .LBB14_8
.LBB14_7:                               ;   in Loop: Header=BB14_8 Depth=1
	s_or_b64 exec, exec, s[2:3]
	v_add_co_u32_e32 v4, vcc, v4, v17
	v_addc_co_u32_e32 v5, vcc, 0, v5, vcc
	v_cmp_le_i64_e32 vcc, s[16:17], v[4:5]
	s_or_b64 s[12:13], vcc, s[12:13]
	s_andn2_b64 exec, exec, s[12:13]
	s_cbranch_execz .LBB14_28
.LBB14_8:                               ; =>This Loop Header: Depth=1
                                        ;     Child Loop BB14_11 Depth 2
	v_lshlrev_b64 v[0:1], 3, v[4:5]
	v_mov_b32_e32 v2, s9
	v_add_co_u32_e32 v0, vcc, s8, v0
	v_addc_co_u32_e32 v1, vcc, v2, v1, vcc
	global_load_dwordx4 v[0:3], v[0:1], off
	v_mov_b32_e32 v28, 0
	s_waitcnt vmcnt(0)
	v_cmp_lt_i64_e32 vcc, v[0:1], v[2:3]
	s_and_saveexec_b64 s[14:15], vcc
	s_cbranch_execz .LBB14_16
; %bb.9:                                ;   in Loop: Header=BB14_8 Depth=1
	v_subrev_co_u32_e32 v2, vcc, s22, v2
	v_subbrev_co_u32_e32 v3, vcc, 0, v3, vcc
	v_subrev_co_u32_e32 v10, vcc, s22, v0
	v_subbrev_co_u32_e32 v11, vcc, 0, v1, vcc
	v_add_co_u32_e32 v0, vcc, v25, v0
	v_addc_co_u32_e32 v1, vcc, v26, v1, vcc
	v_lshlrev_b64 v[12:13], 3, v[0:1]
	v_mov_b32_e32 v1, s11
	v_add_co_u32_e32 v0, vcc, s10, v12
	v_addc_co_u32_e32 v1, vcc, v1, v13, vcc
	v_add_co_u32_e32 v12, vcc, v22, v12
	v_addc_co_u32_e32 v13, vcc, v21, v13, vcc
	v_mov_b32_e32 v28, 0
	s_mov_b64 s[18:19], 0
	s_branch .LBB14_11
.LBB14_10:                              ;   in Loop: Header=BB14_11 Depth=2
	s_or_b64 exec, exec, s[2:3]
	v_add_co_u32_e32 v10, vcc, 8, v10
	v_addc_co_u32_e32 v11, vcc, 0, v11, vcc
	v_cmp_ge_i64_e32 vcc, v[10:11], v[2:3]
	v_add_co_u32_e64 v0, s[2:3], 64, v0
	s_or_b64 s[18:19], vcc, s[18:19]
	v_add_co_u32_e32 v12, vcc, 64, v12
	v_addc_co_u32_e64 v1, s[2:3], 0, v1, s[2:3]
	v_addc_co_u32_e32 v13, vcc, 0, v13, vcc
	s_andn2_b64 exec, exec, s[18:19]
	s_cbranch_execz .LBB14_15
.LBB14_11:                              ;   Parent Loop BB14_8 Depth=1
                                        ; =>  This Inner Loop Header: Depth=2
	v_add_co_u32_e32 v14, vcc, v16, v10
	v_addc_co_u32_e32 v15, vcc, 0, v11, vcc
	v_cmp_lt_i64_e32 vcc, v[14:15], v[2:3]
	v_mov_b32_e32 v14, 0
	v_mov_b32_e32 v15, 0
	;; [unrolled: 1-line block ×4, first 2 shown]
	s_and_saveexec_b64 s[2:3], vcc
	s_cbranch_execz .LBB14_13
; %bb.12:                               ;   in Loop: Header=BB14_11 Depth=2
	global_load_dwordx2 v[14:15], v[0:1], off
	v_add_co_u32_e32 v31, vcc, s20, v12
	v_addc_co_u32_e32 v32, vcc, 0, v13, vcc
	global_load_ushort v29, v[12:13], off
	global_load_ushort v30, v[31:32], off
	s_waitcnt vmcnt(2)
	v_subrev_co_u32_e32 v14, vcc, s22, v14
	v_subbrev_co_u32_e32 v15, vcc, 0, v15, vcc
	v_lshlrev_b64 v[14:15], 1, v[14:15]
.LBB14_13:                              ;   in Loop: Header=BB14_11 Depth=2
	s_or_b64 exec, exec, s[2:3]
	ds_write_b64 v19, v[14:15]
	s_waitcnt vmcnt(1)
	ds_write_b16 v27, v29
	s_waitcnt vmcnt(0)
	ds_write_b16 v27, v30 offset:2
	s_waitcnt lgkmcnt(0)
	; wave barrier
	s_and_saveexec_b64 s[2:3], s[0:1]
	s_cbranch_execz .LBB14_10
; %bb.14:                               ;   in Loop: Header=BB14_11 Depth=2
	ds_read_b128 v[29:32], v18
	ds_read_b128 v[33:36], v18 offset:16
	ds_read_b128 v[37:40], v18 offset:32
	;; [unrolled: 1-line block ×3, first 2 shown]
	s_waitcnt lgkmcnt(3)
	v_lshlrev_b64 v[14:15], 1, v[29:30]
	v_lshlrev_b64 v[29:30], 1, v[31:32]
	v_add_co_u32_e32 v14, vcc, v23, v14
	v_addc_co_u32_e32 v15, vcc, v24, v15, vcc
	v_add_co_u32_e32 v29, vcc, v23, v29
	s_waitcnt lgkmcnt(2)
	v_lshlrev_b64 v[31:32], 1, v[33:34]
	v_addc_co_u32_e32 v30, vcc, v24, v30, vcc
	v_add_co_u32_e32 v31, vcc, v23, v31
	v_lshlrev_b64 v[33:34], 1, v[35:36]
	v_addc_co_u32_e32 v32, vcc, v24, v32, vcc
	v_add_co_u32_e32 v33, vcc, v23, v33
	s_waitcnt lgkmcnt(1)
	v_lshlrev_b64 v[35:36], 1, v[37:38]
	v_addc_co_u32_e32 v34, vcc, v24, v34, vcc
	v_add_co_u32_e32 v35, vcc, v23, v35
	v_lshlrev_b64 v[37:38], 1, v[39:40]
	v_addc_co_u32_e32 v36, vcc, v24, v36, vcc
	v_add_co_u32_e32 v37, vcc, v23, v37
	v_addc_co_u32_e32 v38, vcc, v24, v38, vcc
	global_load_dword v39, v[14:15], off
	global_load_dword v40, v[29:30], off
	global_load_dword v45, v[31:32], off
	global_load_dword v46, v[33:34], off
	global_load_dword v47, v[35:36], off
	global_load_dword v48, v[37:38], off
	s_waitcnt lgkmcnt(0)
	v_lshlrev_b64 v[14:15], 1, v[41:42]
	v_lshlrev_b64 v[29:30], 1, v[43:44]
	v_add_co_u32_e32 v14, vcc, v23, v14
	v_addc_co_u32_e32 v15, vcc, v24, v15, vcc
	v_add_co_u32_e32 v29, vcc, v23, v29
	v_addc_co_u32_e32 v30, vcc, v24, v30, vcc
	global_load_dword v31, v[14:15], off
	global_load_dword v32, v[29:30], off
	ds_read2_b32 v[14:15], v20 offset1:3
	ds_read2_b32 v[29:30], v20 offset0:6 offset1:9
	ds_read_u16 v33, v20 offset:6
	ds_read_u16 v34, v20 offset:8
	ds_read_u16 v35, v20 offset:18
	ds_read_u16 v36, v20 offset:20
	ds_read_u16 v37, v20 offset:30
	ds_read_u16 v38, v20 offset:32
	ds_read_u16 v41, v20 offset:42
	ds_read_u16 v42, v20 offset:44
	s_waitcnt vmcnt(7) lgkmcnt(9)
	v_dot2_f32_f16 v14, v14, v39, v28
	s_waitcnt vmcnt(6) lgkmcnt(7)
	v_fma_mix_f32 v14, v33, v40, v14 op_sel_hi:[1,1,0]
	s_waitcnt lgkmcnt(6)
	v_fma_mix_f32 v14, v34, v40, v14 op_sel:[0,1,0] op_sel_hi:[1,1,0]
	s_waitcnt vmcnt(5)
	v_dot2_f32_f16 v14, v15, v45, v14
	s_waitcnt vmcnt(4) lgkmcnt(5)
	v_fma_mix_f32 v14, v35, v46, v14 op_sel_hi:[1,1,0]
	s_waitcnt lgkmcnt(4)
	v_fma_mix_f32 v14, v36, v46, v14 op_sel:[0,1,0] op_sel_hi:[1,1,0]
	s_waitcnt vmcnt(3)
	;; [unrolled: 6-line block ×3, first 2 shown]
	v_dot2_f32_f16 v14, v30, v31, v14
	s_waitcnt vmcnt(0) lgkmcnt(1)
	v_fma_mix_f32 v14, v41, v32, v14 op_sel_hi:[1,1,0]
	s_waitcnt lgkmcnt(0)
	v_fma_mix_f32 v28, v42, v32, v14 op_sel:[0,1,0] op_sel_hi:[1,1,0]
	s_branch .LBB14_10
.LBB14_15:                              ;   in Loop: Header=BB14_8 Depth=1
	s_or_b64 exec, exec, s[18:19]
.LBB14_16:                              ;   in Loop: Header=BB14_8 Depth=1
	s_or_b64 exec, exec, s[14:15]
	s_and_saveexec_b64 s[2:3], s[0:1]
	s_cbranch_execz .LBB14_7
; %bb.17:                               ;   in Loop: Header=BB14_8 Depth=1
	v_mul_f32_e32 v0, s24, v28
	s_mov_b64 s[14:15], -1
	s_and_b64 vcc, exec, s[6:7]
	s_cbranch_vccz .LBB14_23
; %bb.18:                               ;   in Loop: Header=BB14_8 Depth=1
	s_and_b64 vcc, exec, s[4:5]
	s_cbranch_vccz .LBB14_20
; %bb.19:                               ;   in Loop: Header=BB14_8 Depth=1
	global_load_dword v1, v[6:7], off
	s_mov_b64 s[14:15], 0
	s_waitcnt vmcnt(0)
	v_fma_f32 v1, s26, v1, v0
	global_store_dword v[6:7], v1, off
.LBB14_20:                              ;   in Loop: Header=BB14_8 Depth=1
	s_andn2_b64 vcc, exec, s[14:15]
	s_cbranch_vccnz .LBB14_22
; %bb.21:                               ;   in Loop: Header=BB14_8 Depth=1
	global_load_dword v1, v[8:9], off
	s_waitcnt vmcnt(0)
	v_fma_f32 v1, s26, v1, v0
	global_store_dword v[8:9], v1, off
.LBB14_22:                              ;   in Loop: Header=BB14_8 Depth=1
	s_mov_b64 s[14:15], 0
.LBB14_23:                              ;   in Loop: Header=BB14_8 Depth=1
	s_andn2_b64 vcc, exec, s[14:15]
	s_cbranch_vccnz .LBB14_7
; %bb.24:                               ;   in Loop: Header=BB14_8 Depth=1
	s_mov_b64 s[14:15], -1
	s_and_b64 vcc, exec, s[4:5]
	s_cbranch_vccz .LBB14_26
; %bb.25:                               ;   in Loop: Header=BB14_8 Depth=1
	global_store_dword v[6:7], v0, off
	s_mov_b64 s[14:15], 0
.LBB14_26:                              ;   in Loop: Header=BB14_8 Depth=1
	s_andn2_b64 vcc, exec, s[14:15]
	s_cbranch_vccnz .LBB14_7
; %bb.27:                               ;   in Loop: Header=BB14_8 Depth=1
	global_store_dword v[8:9], v0, off
	s_branch .LBB14_7
.LBB14_28:
	s_endpgm
	.section	.rodata,"a",@progbits
	.p2align	6, 0x0
	.amdhsa_kernel _ZN9rocsparseL29bsrmmnn_small_blockdim_kernelILj64ELj8ELj2EllDF16_DF16_ffEEv20rocsparse_direction_T3_S2_llNS_24const_host_device_scalarIT7_EEPKT2_PKS2_PKT4_PKT5_llS5_PT6_ll16rocsparse_order_21rocsparse_index_base_b
		.amdhsa_group_segment_fixed_size 896
		.amdhsa_private_segment_fixed_size 0
		.amdhsa_kernarg_size 400
		.amdhsa_user_sgpr_count 6
		.amdhsa_user_sgpr_private_segment_buffer 1
		.amdhsa_user_sgpr_dispatch_ptr 0
		.amdhsa_user_sgpr_queue_ptr 0
		.amdhsa_user_sgpr_kernarg_segment_ptr 1
		.amdhsa_user_sgpr_dispatch_id 0
		.amdhsa_user_sgpr_flat_scratch_init 0
		.amdhsa_user_sgpr_private_segment_size 0
		.amdhsa_uses_dynamic_stack 0
		.amdhsa_system_sgpr_private_segment_wavefront_offset 0
		.amdhsa_system_sgpr_workgroup_id_x 1
		.amdhsa_system_sgpr_workgroup_id_y 1
		.amdhsa_system_sgpr_workgroup_id_z 0
		.amdhsa_system_sgpr_workgroup_info 0
		.amdhsa_system_vgpr_workitem_id 0
		.amdhsa_next_free_vgpr 49
		.amdhsa_next_free_sgpr 30
		.amdhsa_reserve_vcc 1
		.amdhsa_reserve_flat_scratch 0
		.amdhsa_float_round_mode_32 0
		.amdhsa_float_round_mode_16_64 0
		.amdhsa_float_denorm_mode_32 3
		.amdhsa_float_denorm_mode_16_64 3
		.amdhsa_dx10_clamp 1
		.amdhsa_ieee_mode 1
		.amdhsa_fp16_overflow 0
		.amdhsa_exception_fp_ieee_invalid_op 0
		.amdhsa_exception_fp_denorm_src 0
		.amdhsa_exception_fp_ieee_div_zero 0
		.amdhsa_exception_fp_ieee_overflow 0
		.amdhsa_exception_fp_ieee_underflow 0
		.amdhsa_exception_fp_ieee_inexact 0
		.amdhsa_exception_int_div_zero 0
	.end_amdhsa_kernel
	.section	.text._ZN9rocsparseL29bsrmmnn_small_blockdim_kernelILj64ELj8ELj2EllDF16_DF16_ffEEv20rocsparse_direction_T3_S2_llNS_24const_host_device_scalarIT7_EEPKT2_PKS2_PKT4_PKT5_llS5_PT6_ll16rocsparse_order_21rocsparse_index_base_b,"axG",@progbits,_ZN9rocsparseL29bsrmmnn_small_blockdim_kernelILj64ELj8ELj2EllDF16_DF16_ffEEv20rocsparse_direction_T3_S2_llNS_24const_host_device_scalarIT7_EEPKT2_PKS2_PKT4_PKT5_llS5_PT6_ll16rocsparse_order_21rocsparse_index_base_b,comdat
.Lfunc_end14:
	.size	_ZN9rocsparseL29bsrmmnn_small_blockdim_kernelILj64ELj8ELj2EllDF16_DF16_ffEEv20rocsparse_direction_T3_S2_llNS_24const_host_device_scalarIT7_EEPKT2_PKS2_PKT4_PKT5_llS5_PT6_ll16rocsparse_order_21rocsparse_index_base_b, .Lfunc_end14-_ZN9rocsparseL29bsrmmnn_small_blockdim_kernelILj64ELj8ELj2EllDF16_DF16_ffEEv20rocsparse_direction_T3_S2_llNS_24const_host_device_scalarIT7_EEPKT2_PKS2_PKT4_PKT5_llS5_PT6_ll16rocsparse_order_21rocsparse_index_base_b
                                        ; -- End function
	.set _ZN9rocsparseL29bsrmmnn_small_blockdim_kernelILj64ELj8ELj2EllDF16_DF16_ffEEv20rocsparse_direction_T3_S2_llNS_24const_host_device_scalarIT7_EEPKT2_PKS2_PKT4_PKT5_llS5_PT6_ll16rocsparse_order_21rocsparse_index_base_b.num_vgpr, 49
	.set _ZN9rocsparseL29bsrmmnn_small_blockdim_kernelILj64ELj8ELj2EllDF16_DF16_ffEEv20rocsparse_direction_T3_S2_llNS_24const_host_device_scalarIT7_EEPKT2_PKS2_PKT4_PKT5_llS5_PT6_ll16rocsparse_order_21rocsparse_index_base_b.num_agpr, 0
	.set _ZN9rocsparseL29bsrmmnn_small_blockdim_kernelILj64ELj8ELj2EllDF16_DF16_ffEEv20rocsparse_direction_T3_S2_llNS_24const_host_device_scalarIT7_EEPKT2_PKS2_PKT4_PKT5_llS5_PT6_ll16rocsparse_order_21rocsparse_index_base_b.numbered_sgpr, 30
	.set _ZN9rocsparseL29bsrmmnn_small_blockdim_kernelILj64ELj8ELj2EllDF16_DF16_ffEEv20rocsparse_direction_T3_S2_llNS_24const_host_device_scalarIT7_EEPKT2_PKS2_PKT4_PKT5_llS5_PT6_ll16rocsparse_order_21rocsparse_index_base_b.num_named_barrier, 0
	.set _ZN9rocsparseL29bsrmmnn_small_blockdim_kernelILj64ELj8ELj2EllDF16_DF16_ffEEv20rocsparse_direction_T3_S2_llNS_24const_host_device_scalarIT7_EEPKT2_PKS2_PKT4_PKT5_llS5_PT6_ll16rocsparse_order_21rocsparse_index_base_b.private_seg_size, 0
	.set _ZN9rocsparseL29bsrmmnn_small_blockdim_kernelILj64ELj8ELj2EllDF16_DF16_ffEEv20rocsparse_direction_T3_S2_llNS_24const_host_device_scalarIT7_EEPKT2_PKS2_PKT4_PKT5_llS5_PT6_ll16rocsparse_order_21rocsparse_index_base_b.uses_vcc, 1
	.set _ZN9rocsparseL29bsrmmnn_small_blockdim_kernelILj64ELj8ELj2EllDF16_DF16_ffEEv20rocsparse_direction_T3_S2_llNS_24const_host_device_scalarIT7_EEPKT2_PKS2_PKT4_PKT5_llS5_PT6_ll16rocsparse_order_21rocsparse_index_base_b.uses_flat_scratch, 0
	.set _ZN9rocsparseL29bsrmmnn_small_blockdim_kernelILj64ELj8ELj2EllDF16_DF16_ffEEv20rocsparse_direction_T3_S2_llNS_24const_host_device_scalarIT7_EEPKT2_PKS2_PKT4_PKT5_llS5_PT6_ll16rocsparse_order_21rocsparse_index_base_b.has_dyn_sized_stack, 0
	.set _ZN9rocsparseL29bsrmmnn_small_blockdim_kernelILj64ELj8ELj2EllDF16_DF16_ffEEv20rocsparse_direction_T3_S2_llNS_24const_host_device_scalarIT7_EEPKT2_PKS2_PKT4_PKT5_llS5_PT6_ll16rocsparse_order_21rocsparse_index_base_b.has_recursion, 0
	.set _ZN9rocsparseL29bsrmmnn_small_blockdim_kernelILj64ELj8ELj2EllDF16_DF16_ffEEv20rocsparse_direction_T3_S2_llNS_24const_host_device_scalarIT7_EEPKT2_PKS2_PKT4_PKT5_llS5_PT6_ll16rocsparse_order_21rocsparse_index_base_b.has_indirect_call, 0
	.section	.AMDGPU.csdata,"",@progbits
; Kernel info:
; codeLenInByte = 1528
; TotalNumSgprs: 34
; NumVgprs: 49
; ScratchSize: 0
; MemoryBound: 0
; FloatMode: 240
; IeeeMode: 1
; LDSByteSize: 896 bytes/workgroup (compile time only)
; SGPRBlocks: 4
; VGPRBlocks: 12
; NumSGPRsForWavesPerEU: 34
; NumVGPRsForWavesPerEU: 49
; Occupancy: 4
; WaveLimiterHint : 1
; COMPUTE_PGM_RSRC2:SCRATCH_EN: 0
; COMPUTE_PGM_RSRC2:USER_SGPR: 6
; COMPUTE_PGM_RSRC2:TRAP_HANDLER: 0
; COMPUTE_PGM_RSRC2:TGID_X_EN: 1
; COMPUTE_PGM_RSRC2:TGID_Y_EN: 1
; COMPUTE_PGM_RSRC2:TGID_Z_EN: 0
; COMPUTE_PGM_RSRC2:TIDIG_COMP_CNT: 0
	.section	.text._ZN9rocsparseL29bsrmmnn_small_blockdim_kernelILj64ELj8ELj2EiiaaiiEEv20rocsparse_direction_T3_S2_llNS_24const_host_device_scalarIT7_EEPKT2_PKS2_PKT4_PKT5_llS5_PT6_ll16rocsparse_order_21rocsparse_index_base_b,"axG",@progbits,_ZN9rocsparseL29bsrmmnn_small_blockdim_kernelILj64ELj8ELj2EiiaaiiEEv20rocsparse_direction_T3_S2_llNS_24const_host_device_scalarIT7_EEPKT2_PKS2_PKT4_PKT5_llS5_PT6_ll16rocsparse_order_21rocsparse_index_base_b,comdat
	.globl	_ZN9rocsparseL29bsrmmnn_small_blockdim_kernelILj64ELj8ELj2EiiaaiiEEv20rocsparse_direction_T3_S2_llNS_24const_host_device_scalarIT7_EEPKT2_PKS2_PKT4_PKT5_llS5_PT6_ll16rocsparse_order_21rocsparse_index_base_b ; -- Begin function _ZN9rocsparseL29bsrmmnn_small_blockdim_kernelILj64ELj8ELj2EiiaaiiEEv20rocsparse_direction_T3_S2_llNS_24const_host_device_scalarIT7_EEPKT2_PKS2_PKT4_PKT5_llS5_PT6_ll16rocsparse_order_21rocsparse_index_base_b
	.p2align	8
	.type	_ZN9rocsparseL29bsrmmnn_small_blockdim_kernelILj64ELj8ELj2EiiaaiiEEv20rocsparse_direction_T3_S2_llNS_24const_host_device_scalarIT7_EEPKT2_PKS2_PKT4_PKT5_llS5_PT6_ll16rocsparse_order_21rocsparse_index_base_b,@function
_ZN9rocsparseL29bsrmmnn_small_blockdim_kernelILj64ELj8ELj2EiiaaiiEEv20rocsparse_direction_T3_S2_llNS_24const_host_device_scalarIT7_EEPKT2_PKS2_PKT4_PKT5_llS5_PT6_ll16rocsparse_order_21rocsparse_index_base_b: ; @_ZN9rocsparseL29bsrmmnn_small_blockdim_kernelILj64ELj8ELj2EiiaaiiEEv20rocsparse_direction_T3_S2_llNS_24const_host_device_scalarIT7_EEPKT2_PKS2_PKT4_PKT5_llS5_PT6_ll16rocsparse_order_21rocsparse_index_base_b
; %bb.0:
	s_load_dwordx4 s[16:19], s[4:5], 0x78
	s_load_dwordx2 s[8:9], s[4:5], 0x20
	s_mov_b64 s[10:11], -1
                                        ; implicit-def: $sgpr28
	s_waitcnt lgkmcnt(0)
	s_bitcmp1_b32 s18, 0
	s_cselect_b64 s[0:1], -1, 0
	s_xor_b64 s[2:3], s[0:1], -1
	s_and_b64 vcc, exec, s[2:3]
	s_cbranch_vccnz .LBB15_4
; %bb.1:
	s_load_dwordx2 s[0:1], s[4:5], 0x58
	s_andn2_b64 vcc, exec, s[10:11]
	s_cbranch_vccz .LBB15_5
.LBB15_2:
	s_and_b64 vcc, exec, s[2:3]
	s_cbranch_vccz .LBB15_6
.LBB15_3:
	s_waitcnt lgkmcnt(0)
	s_load_dword s29, s[0:1], 0x0
	s_cbranch_execz .LBB15_7
	s_branch .LBB15_8
.LBB15_4:
	s_load_dword s28, s[8:9], 0x0
	s_load_dwordx2 s[0:1], s[4:5], 0x58
	s_cbranch_execnz .LBB15_2
.LBB15_5:
	s_waitcnt lgkmcnt(0)
	s_mov_b32 s28, s8
	s_and_b64 vcc, exec, s[2:3]
	s_cbranch_vccnz .LBB15_3
.LBB15_6:
                                        ; implicit-def: $sgpr29
.LBB15_7:
	s_waitcnt lgkmcnt(0)
	s_mov_b32 s29, s0
.LBB15_8:
	s_waitcnt lgkmcnt(0)
	s_cmp_eq_u32 s28, 0
	s_cselect_b64 s[0:1], -1, 0
	s_cmp_eq_u32 s29, 1
	s_cselect_b64 s[2:3], -1, 0
	s_and_b64 s[0:1], s[0:1], s[2:3]
	s_and_b64 vcc, exec, s[0:1]
	s_cbranch_vccnz .LBB15_32
; %bb.9:
	s_load_dword s0, s[4:5], 0x88
	s_load_dwordx4 s[20:23], s[4:5], 0x0
	s_add_u32 s1, s4, 0x88
	s_addc_u32 s3, s5, 0
	v_mov_b32_e32 v2, 0
	s_waitcnt lgkmcnt(0)
	s_cmp_lt_u32 s6, s0
	s_cselect_b32 s2, 12, 18
	s_add_u32 s2, s1, s2
	s_addc_u32 s3, s3, 0
	global_load_ushort v4, v2, s[2:3]
	s_waitcnt vmcnt(0)
	v_mul_lo_u32 v1, s6, v4
	v_add_u32_e32 v3, v1, v0
	v_lshrrev_b32_e32 v1, 4, v3
	v_cmp_gt_i32_e32 vcc, s21, v1
	s_and_saveexec_b64 s[2:3], vcc
	s_cbranch_execz .LBB15_32
; %bb.10:
	v_mul_lo_u32 v4, s0, v4
	v_and_b32_e32 v11, 7, v3
	s_load_dwordx8 s[8:15], s[4:5], 0x28
	s_load_dwordx4 s[24:27], s[4:5], 0x60
	s_load_dwordx2 s[0:1], s[4:5], 0x48
	v_lshl_or_b32 v7, s7, 3, v11
	v_ashrrev_i32_e32 v8, 31, v7
	v_lshrrev_b32_e32 v12, 4, v4
	v_lshrrev_b32_e32 v16, 3, v3
	v_bfe_u32 v17, v3, 3, 1
	v_lshlrev_b64 v[3:4], 2, v[7:8]
	s_waitcnt lgkmcnt(0)
	v_mov_b32_e32 v5, s25
	v_add_co_u32_e32 v18, vcc, s24, v3
	v_addc_co_u32_e32 v19, vcc, v5, v4, vcc
	v_mov_b32_e32 v3, s14
	v_mov_b32_e32 v4, s15
	v_lshrrev_b32_e32 v15, 3, v0
	v_mul_lo_u32 v0, s0, v8
	v_mul_lo_u32 v9, s1, v7
	v_mad_u64_u32 v[3:4], s[0:1], s0, v7, v[3:4]
	v_mad_u64_u32 v[5:6], s[0:1], s26, v16, 0
	v_add3_u32 v4, v9, v4, v0
	s_cmp_eq_u32 s20, 0
	v_mov_b32_e32 v0, v6
	v_mad_u64_u32 v[9:10], s[0:1], s27, v16, v[0:1]
	v_cmp_gt_i32_e64 s[0:1], s22, v7
	v_mul_lo_u32 v10, s26, v8
	v_mov_b32_e32 v6, v9
	v_lshlrev_b64 v[5:6], 2, v[5:6]
	v_lshlrev_b32_e32 v21, 1, v17
	v_add_co_u32_e64 v5, s[2:3], v18, v5
	v_addc_co_u32_e64 v6, s[2:3], v19, v6, s[2:3]
	v_mul_lo_u32 v18, s27, v7
	v_mad_u64_u32 v[7:8], s[2:3], s26, v7, 0
	s_cselect_b64 vcc, -1, 0
	v_mul_u32_u24_e32 v0, 24, v15
	v_add3_u32 v8, v8, v10, v18
	v_lshlrev_b64 v[7:8], 2, v[7:8]
	v_mov_b32_e32 v10, s25
	v_add_co_u32_e64 v7, s[2:3], s24, v7
	v_addc_co_u32_e64 v8, s[2:3], v10, v8, s[2:3]
	v_lshlrev_b32_e32 v10, 2, v16
	s_cmp_lg_u32 s29, 0
	v_add_co_u32_e64 v7, s[2:3], v7, v10
	v_or_b32_e32 v20, 2, v17
	v_lshlrev_b32_e32 v13, 5, v15
	v_or_b32_e32 v15, 0x100, v0
	v_mul_u32_u24_e32 v0, 3, v11
	v_or_b32_e32 v9, 1, v21
	s_cselect_b64 s[4:5], -1, 0
	s_cmp_lg_u32 s16, 1
	v_addc_co_u32_e64 v8, s[2:3], 0, v8, s[2:3]
	v_lshl_or_b32 v14, v11, 2, v13
	s_cselect_b64 s[6:7], -1, 0
	v_cndmask_b32_e32 v16, v17, v21, vcc
	v_cndmask_b32_e32 v17, v20, v9, vcc
	v_subrev_u32_e32 v18, s17, v11
	s_mov_b64 s[2:3], 0
	v_add_u32_e32 v19, v15, v0
	s_mov_b32 s16, 0x5040100
	s_mov_b32 s20, 0xc0c0100
	;; [unrolled: 1-line block ×3, first 2 shown]
	s_branch .LBB15_12
.LBB15_11:                              ;   in Loop: Header=BB15_12 Depth=1
	s_or_b64 exec, exec, s[14:15]
	v_add_u32_e32 v1, v1, v12
	v_cmp_le_i32_e32 vcc, s21, v1
	s_or_b64 s[2:3], vcc, s[2:3]
	s_andn2_b64 exec, exec, s[2:3]
	s_cbranch_execz .LBB15_32
.LBB15_12:                              ; =>This Loop Header: Depth=1
                                        ;     Child Loop BB15_15 Depth 2
	v_lshlrev_b64 v[9:10], 2, v[1:2]
	v_mov_b32_e32 v0, s9
	v_add_co_u32_e32 v9, vcc, s8, v9
	v_addc_co_u32_e32 v10, vcc, v0, v10, vcc
	global_load_dwordx2 v[9:10], v[9:10], off
	v_mov_b32_e32 v0, 0
	s_waitcnt vmcnt(0)
	v_cmp_lt_i32_e32 vcc, v9, v10
	s_and_saveexec_b64 s[14:15], vcc
	s_cbranch_execz .LBB15_20
; %bb.13:                               ;   in Loop: Header=BB15_12 Depth=1
	v_add_lshl_u32 v0, v18, v9, 2
	v_subrev_u32_e32 v20, s17, v10
	v_subrev_u32_e32 v21, s17, v9
	v_or_b32_e32 v22, v17, v0
	v_or_b32_e32 v23, v16, v0
	v_mov_b32_e32 v0, 0
	s_mov_b64 s[18:19], 0
	s_branch .LBB15_15
.LBB15_14:                              ;   in Loop: Header=BB15_15 Depth=2
	s_or_b64 exec, exec, s[22:23]
	v_add_u32_e32 v21, 8, v21
	v_cmp_ge_i32_e32 vcc, v21, v20
	v_add_u32_e32 v22, 32, v22
	s_or_b64 s[18:19], vcc, s[18:19]
	v_add_u32_e32 v23, 32, v23
	s_andn2_b64 exec, exec, s[18:19]
	s_cbranch_execz .LBB15_19
.LBB15_15:                              ;   Parent Loop BB15_12 Depth=1
                                        ; =>  This Inner Loop Header: Depth=2
	v_add_u32_e32 v9, v11, v21
	v_cmp_lt_i32_e32 vcc, v9, v20
	v_mov_b32_e32 v25, 0
	v_mov_b32_e32 v10, 0
	;; [unrolled: 1-line block ×3, first 2 shown]
	s_and_saveexec_b64 s[22:23], vcc
	s_cbranch_execz .LBB15_17
; %bb.16:                               ;   in Loop: Header=BB15_15 Depth=2
	v_ashrrev_i32_e32 v10, 31, v9
	v_lshlrev_b64 v[9:10], 2, v[9:10]
	v_mov_b32_e32 v24, s11
	v_add_co_u32_e32 v25, vcc, s10, v9
	v_addc_co_u32_e32 v26, vcc, v24, v10, vcc
	global_load_dword v9, v[25:26], off
	global_load_ubyte v10, v23, s[12:13]
	global_load_ubyte v24, v22, s[12:13]
	s_waitcnt vmcnt(2)
	v_subrev_u32_e32 v9, s17, v9
	v_lshlrev_b32_e32 v25, 1, v9
.LBB15_17:                              ;   in Loop: Header=BB15_15 Depth=2
	s_or_b64 exec, exec, s[22:23]
	ds_write_b32 v14, v25
	s_waitcnt vmcnt(1)
	ds_write_b8 v19, v10
	s_waitcnt vmcnt(0)
	ds_write_b8 v19, v24 offset:1
	s_waitcnt lgkmcnt(0)
	; wave barrier
	s_and_saveexec_b64 s[22:23], s[0:1]
	s_cbranch_execz .LBB15_14
; %bb.18:                               ;   in Loop: Header=BB15_15 Depth=2
	ds_read_b128 v[24:27], v13
	ds_read_b128 v[28:31], v13 offset:16
	s_waitcnt lgkmcnt(1)
	v_ashrrev_i32_e32 v10, 31, v24
	v_add_co_u32_e32 v9, vcc, v3, v24
	v_addc_co_u32_e32 v10, vcc, v4, v10, vcc
	v_ashrrev_i32_e32 v32, 31, v25
	v_add_co_u32_e32 v24, vcc, v3, v25
	v_addc_co_u32_e32 v25, vcc, v4, v32, vcc
	;; [unrolled: 3-line block ×4, first 2 shown]
	s_waitcnt lgkmcnt(0)
	v_ashrrev_i32_e32 v35, 31, v28
	v_add_co_u32_e32 v34, vcc, v3, v28
	v_addc_co_u32_e32 v35, vcc, v4, v35, vcc
	v_ashrrev_i32_e32 v36, 31, v29
	v_add_co_u32_e32 v28, vcc, v3, v29
	v_addc_co_u32_e32 v29, vcc, v4, v36, vcc
	;; [unrolled: 3-line block ×4, first 2 shown]
	global_load_ushort v38, v[9:10], off
	global_load_ushort v39, v[24:25], off
                                        ; kill: killed $vgpr9 killed $vgpr10
                                        ; kill: killed $vgpr24 killed $vgpr25
	s_nop 0
	global_load_ushort v9, v[32:33], off
	global_load_ushort v10, v[26:27], off
	;; [unrolled: 1-line block ×4, first 2 shown]
                                        ; kill: killed $vgpr28 killed $vgpr29
                                        ; kill: killed $vgpr32 killed $vgpr33
                                        ; kill: killed $vgpr26 killed $vgpr27
                                        ; kill: killed $vgpr34 killed $vgpr35
	s_nop 0
	global_load_ushort v26, v[36:37], off
	global_load_ushort v27, v[30:31], off
	ds_read_u16 v28, v15
	ds_read_i8 v29, v15 offset:3
	ds_read_i8 v30, v15 offset:4
	ds_read_u16 v31, v15 offset:6
	ds_read_u16 v32, v15 offset:9
	;; [unrolled: 1-line block ×6, first 2 shown]
	s_waitcnt lgkmcnt(8)
	v_perm_b32 v28, v28, v28, s20
	s_waitcnt lgkmcnt(6)
	v_perm_b32 v29, v30, v29, s24
	v_or_b32_e32 v28, v29, v28
	s_waitcnt lgkmcnt(4)
	v_perm_b32 v30, v32, v31, s16
	s_waitcnt lgkmcnt(2)
	v_perm_b32 v31, v34, v33, s16
	s_waitcnt vmcnt(6)
	v_perm_b32 v29, v39, v38, s16
	v_dot4_i32_i8 v0, v29, v28, v0
	s_waitcnt vmcnt(4)
	v_perm_b32 v9, v10, v9, s16
	v_dot4_i32_i8 v0, v9, v30, v0
	;; [unrolled: 3-line block ×3, first 2 shown]
	s_waitcnt lgkmcnt(0)
	v_perm_b32 v9, v36, v35, s16
	s_waitcnt vmcnt(0)
	v_perm_b32 v24, v27, v26, s16
	v_dot4_i32_i8 v0, v24, v9, v0
	s_branch .LBB15_14
.LBB15_19:                              ;   in Loop: Header=BB15_12 Depth=1
	s_or_b64 exec, exec, s[18:19]
.LBB15_20:                              ;   in Loop: Header=BB15_12 Depth=1
	s_or_b64 exec, exec, s[14:15]
	s_and_saveexec_b64 s[14:15], s[0:1]
	s_cbranch_execz .LBB15_11
; %bb.21:                               ;   in Loop: Header=BB15_12 Depth=1
	v_mul_lo_u32 v0, v0, s28
	s_mov_b64 s[18:19], -1
	s_and_b64 vcc, exec, s[4:5]
	s_cbranch_vccz .LBB15_27
; %bb.22:                               ;   in Loop: Header=BB15_12 Depth=1
	s_and_b64 vcc, exec, s[6:7]
	s_cbranch_vccz .LBB15_24
; %bb.23:                               ;   in Loop: Header=BB15_12 Depth=1
	global_load_dword v9, v[5:6], off
	s_waitcnt vmcnt(0)
	v_mad_u64_u32 v[9:10], s[18:19], v9, s29, v[0:1]
	s_mov_b64 s[18:19], 0
	global_store_dword v[5:6], v9, off
.LBB15_24:                              ;   in Loop: Header=BB15_12 Depth=1
	s_andn2_b64 vcc, exec, s[18:19]
	s_cbranch_vccnz .LBB15_26
; %bb.25:                               ;   in Loop: Header=BB15_12 Depth=1
	global_load_dword v9, v[7:8], off
	s_waitcnt vmcnt(0)
	v_mad_u64_u32 v[9:10], s[18:19], v9, s29, v[0:1]
	global_store_dword v[7:8], v9, off
.LBB15_26:                              ;   in Loop: Header=BB15_12 Depth=1
	s_mov_b64 s[18:19], 0
.LBB15_27:                              ;   in Loop: Header=BB15_12 Depth=1
	s_andn2_b64 vcc, exec, s[18:19]
	s_cbranch_vccnz .LBB15_11
; %bb.28:                               ;   in Loop: Header=BB15_12 Depth=1
	s_mov_b64 s[18:19], -1
	s_and_b64 vcc, exec, s[6:7]
	s_cbranch_vccz .LBB15_30
; %bb.29:                               ;   in Loop: Header=BB15_12 Depth=1
	global_store_dword v[5:6], v0, off
	s_mov_b64 s[18:19], 0
.LBB15_30:                              ;   in Loop: Header=BB15_12 Depth=1
	s_andn2_b64 vcc, exec, s[18:19]
	s_cbranch_vccnz .LBB15_11
; %bb.31:                               ;   in Loop: Header=BB15_12 Depth=1
	global_store_dword v[7:8], v0, off
	s_branch .LBB15_11
.LBB15_32:
	s_endpgm
	.section	.rodata,"a",@progbits
	.p2align	6, 0x0
	.amdhsa_kernel _ZN9rocsparseL29bsrmmnn_small_blockdim_kernelILj64ELj8ELj2EiiaaiiEEv20rocsparse_direction_T3_S2_llNS_24const_host_device_scalarIT7_EEPKT2_PKS2_PKT4_PKT5_llS5_PT6_ll16rocsparse_order_21rocsparse_index_base_b
		.amdhsa_group_segment_fixed_size 448
		.amdhsa_private_segment_fixed_size 0
		.amdhsa_kernarg_size 392
		.amdhsa_user_sgpr_count 6
		.amdhsa_user_sgpr_private_segment_buffer 1
		.amdhsa_user_sgpr_dispatch_ptr 0
		.amdhsa_user_sgpr_queue_ptr 0
		.amdhsa_user_sgpr_kernarg_segment_ptr 1
		.amdhsa_user_sgpr_dispatch_id 0
		.amdhsa_user_sgpr_flat_scratch_init 0
		.amdhsa_user_sgpr_private_segment_size 0
		.amdhsa_uses_dynamic_stack 0
		.amdhsa_system_sgpr_private_segment_wavefront_offset 0
		.amdhsa_system_sgpr_workgroup_id_x 1
		.amdhsa_system_sgpr_workgroup_id_y 1
		.amdhsa_system_sgpr_workgroup_id_z 0
		.amdhsa_system_sgpr_workgroup_info 0
		.amdhsa_system_vgpr_workitem_id 0
		.amdhsa_next_free_vgpr 40
		.amdhsa_next_free_sgpr 30
		.amdhsa_reserve_vcc 1
		.amdhsa_reserve_flat_scratch 0
		.amdhsa_float_round_mode_32 0
		.amdhsa_float_round_mode_16_64 0
		.amdhsa_float_denorm_mode_32 3
		.amdhsa_float_denorm_mode_16_64 3
		.amdhsa_dx10_clamp 1
		.amdhsa_ieee_mode 1
		.amdhsa_fp16_overflow 0
		.amdhsa_exception_fp_ieee_invalid_op 0
		.amdhsa_exception_fp_denorm_src 0
		.amdhsa_exception_fp_ieee_div_zero 0
		.amdhsa_exception_fp_ieee_overflow 0
		.amdhsa_exception_fp_ieee_underflow 0
		.amdhsa_exception_fp_ieee_inexact 0
		.amdhsa_exception_int_div_zero 0
	.end_amdhsa_kernel
	.section	.text._ZN9rocsparseL29bsrmmnn_small_blockdim_kernelILj64ELj8ELj2EiiaaiiEEv20rocsparse_direction_T3_S2_llNS_24const_host_device_scalarIT7_EEPKT2_PKS2_PKT4_PKT5_llS5_PT6_ll16rocsparse_order_21rocsparse_index_base_b,"axG",@progbits,_ZN9rocsparseL29bsrmmnn_small_blockdim_kernelILj64ELj8ELj2EiiaaiiEEv20rocsparse_direction_T3_S2_llNS_24const_host_device_scalarIT7_EEPKT2_PKS2_PKT4_PKT5_llS5_PT6_ll16rocsparse_order_21rocsparse_index_base_b,comdat
.Lfunc_end15:
	.size	_ZN9rocsparseL29bsrmmnn_small_blockdim_kernelILj64ELj8ELj2EiiaaiiEEv20rocsparse_direction_T3_S2_llNS_24const_host_device_scalarIT7_EEPKT2_PKS2_PKT4_PKT5_llS5_PT6_ll16rocsparse_order_21rocsparse_index_base_b, .Lfunc_end15-_ZN9rocsparseL29bsrmmnn_small_blockdim_kernelILj64ELj8ELj2EiiaaiiEEv20rocsparse_direction_T3_S2_llNS_24const_host_device_scalarIT7_EEPKT2_PKS2_PKT4_PKT5_llS5_PT6_ll16rocsparse_order_21rocsparse_index_base_b
                                        ; -- End function
	.set _ZN9rocsparseL29bsrmmnn_small_blockdim_kernelILj64ELj8ELj2EiiaaiiEEv20rocsparse_direction_T3_S2_llNS_24const_host_device_scalarIT7_EEPKT2_PKS2_PKT4_PKT5_llS5_PT6_ll16rocsparse_order_21rocsparse_index_base_b.num_vgpr, 40
	.set _ZN9rocsparseL29bsrmmnn_small_blockdim_kernelILj64ELj8ELj2EiiaaiiEEv20rocsparse_direction_T3_S2_llNS_24const_host_device_scalarIT7_EEPKT2_PKS2_PKT4_PKT5_llS5_PT6_ll16rocsparse_order_21rocsparse_index_base_b.num_agpr, 0
	.set _ZN9rocsparseL29bsrmmnn_small_blockdim_kernelILj64ELj8ELj2EiiaaiiEEv20rocsparse_direction_T3_S2_llNS_24const_host_device_scalarIT7_EEPKT2_PKS2_PKT4_PKT5_llS5_PT6_ll16rocsparse_order_21rocsparse_index_base_b.numbered_sgpr, 30
	.set _ZN9rocsparseL29bsrmmnn_small_blockdim_kernelILj64ELj8ELj2EiiaaiiEEv20rocsparse_direction_T3_S2_llNS_24const_host_device_scalarIT7_EEPKT2_PKS2_PKT4_PKT5_llS5_PT6_ll16rocsparse_order_21rocsparse_index_base_b.num_named_barrier, 0
	.set _ZN9rocsparseL29bsrmmnn_small_blockdim_kernelILj64ELj8ELj2EiiaaiiEEv20rocsparse_direction_T3_S2_llNS_24const_host_device_scalarIT7_EEPKT2_PKS2_PKT4_PKT5_llS5_PT6_ll16rocsparse_order_21rocsparse_index_base_b.private_seg_size, 0
	.set _ZN9rocsparseL29bsrmmnn_small_blockdim_kernelILj64ELj8ELj2EiiaaiiEEv20rocsparse_direction_T3_S2_llNS_24const_host_device_scalarIT7_EEPKT2_PKS2_PKT4_PKT5_llS5_PT6_ll16rocsparse_order_21rocsparse_index_base_b.uses_vcc, 1
	.set _ZN9rocsparseL29bsrmmnn_small_blockdim_kernelILj64ELj8ELj2EiiaaiiEEv20rocsparse_direction_T3_S2_llNS_24const_host_device_scalarIT7_EEPKT2_PKS2_PKT4_PKT5_llS5_PT6_ll16rocsparse_order_21rocsparse_index_base_b.uses_flat_scratch, 0
	.set _ZN9rocsparseL29bsrmmnn_small_blockdim_kernelILj64ELj8ELj2EiiaaiiEEv20rocsparse_direction_T3_S2_llNS_24const_host_device_scalarIT7_EEPKT2_PKS2_PKT4_PKT5_llS5_PT6_ll16rocsparse_order_21rocsparse_index_base_b.has_dyn_sized_stack, 0
	.set _ZN9rocsparseL29bsrmmnn_small_blockdim_kernelILj64ELj8ELj2EiiaaiiEEv20rocsparse_direction_T3_S2_llNS_24const_host_device_scalarIT7_EEPKT2_PKS2_PKT4_PKT5_llS5_PT6_ll16rocsparse_order_21rocsparse_index_base_b.has_recursion, 0
	.set _ZN9rocsparseL29bsrmmnn_small_blockdim_kernelILj64ELj8ELj2EiiaaiiEEv20rocsparse_direction_T3_S2_llNS_24const_host_device_scalarIT7_EEPKT2_PKS2_PKT4_PKT5_llS5_PT6_ll16rocsparse_order_21rocsparse_index_base_b.has_indirect_call, 0
	.section	.AMDGPU.csdata,"",@progbits
; Kernel info:
; codeLenInByte = 1496
; TotalNumSgprs: 34
; NumVgprs: 40
; ScratchSize: 0
; MemoryBound: 0
; FloatMode: 240
; IeeeMode: 1
; LDSByteSize: 448 bytes/workgroup (compile time only)
; SGPRBlocks: 4
; VGPRBlocks: 9
; NumSGPRsForWavesPerEU: 34
; NumVGPRsForWavesPerEU: 40
; Occupancy: 6
; WaveLimiterHint : 0
; COMPUTE_PGM_RSRC2:SCRATCH_EN: 0
; COMPUTE_PGM_RSRC2:USER_SGPR: 6
; COMPUTE_PGM_RSRC2:TRAP_HANDLER: 0
; COMPUTE_PGM_RSRC2:TGID_X_EN: 1
; COMPUTE_PGM_RSRC2:TGID_Y_EN: 1
; COMPUTE_PGM_RSRC2:TGID_Z_EN: 0
; COMPUTE_PGM_RSRC2:TIDIG_COMP_CNT: 0
	.section	.text._ZN9rocsparseL29bsrmmnn_small_blockdim_kernelILj64ELj8ELj2EliaaiiEEv20rocsparse_direction_T3_S2_llNS_24const_host_device_scalarIT7_EEPKT2_PKS2_PKT4_PKT5_llS5_PT6_ll16rocsparse_order_21rocsparse_index_base_b,"axG",@progbits,_ZN9rocsparseL29bsrmmnn_small_blockdim_kernelILj64ELj8ELj2EliaaiiEEv20rocsparse_direction_T3_S2_llNS_24const_host_device_scalarIT7_EEPKT2_PKS2_PKT4_PKT5_llS5_PT6_ll16rocsparse_order_21rocsparse_index_base_b,comdat
	.globl	_ZN9rocsparseL29bsrmmnn_small_blockdim_kernelILj64ELj8ELj2EliaaiiEEv20rocsparse_direction_T3_S2_llNS_24const_host_device_scalarIT7_EEPKT2_PKS2_PKT4_PKT5_llS5_PT6_ll16rocsparse_order_21rocsparse_index_base_b ; -- Begin function _ZN9rocsparseL29bsrmmnn_small_blockdim_kernelILj64ELj8ELj2EliaaiiEEv20rocsparse_direction_T3_S2_llNS_24const_host_device_scalarIT7_EEPKT2_PKS2_PKT4_PKT5_llS5_PT6_ll16rocsparse_order_21rocsparse_index_base_b
	.p2align	8
	.type	_ZN9rocsparseL29bsrmmnn_small_blockdim_kernelILj64ELj8ELj2EliaaiiEEv20rocsparse_direction_T3_S2_llNS_24const_host_device_scalarIT7_EEPKT2_PKS2_PKT4_PKT5_llS5_PT6_ll16rocsparse_order_21rocsparse_index_base_b,@function
_ZN9rocsparseL29bsrmmnn_small_blockdim_kernelILj64ELj8ELj2EliaaiiEEv20rocsparse_direction_T3_S2_llNS_24const_host_device_scalarIT7_EEPKT2_PKS2_PKT4_PKT5_llS5_PT6_ll16rocsparse_order_21rocsparse_index_base_b: ; @_ZN9rocsparseL29bsrmmnn_small_blockdim_kernelILj64ELj8ELj2EliaaiiEEv20rocsparse_direction_T3_S2_llNS_24const_host_device_scalarIT7_EEPKT2_PKS2_PKT4_PKT5_llS5_PT6_ll16rocsparse_order_21rocsparse_index_base_b
; %bb.0:
	s_load_dwordx4 s[16:19], s[4:5], 0x78
	s_load_dwordx2 s[8:9], s[4:5], 0x20
	s_mov_b64 s[10:11], -1
                                        ; implicit-def: $sgpr28
	s_waitcnt lgkmcnt(0)
	s_bitcmp1_b32 s18, 0
	s_cselect_b64 s[0:1], -1, 0
	s_xor_b64 s[2:3], s[0:1], -1
	s_and_b64 vcc, exec, s[2:3]
	s_cbranch_vccnz .LBB16_4
; %bb.1:
	s_load_dwordx2 s[0:1], s[4:5], 0x58
	s_andn2_b64 vcc, exec, s[10:11]
	s_cbranch_vccz .LBB16_5
.LBB16_2:
	s_and_b64 vcc, exec, s[2:3]
	s_cbranch_vccz .LBB16_6
.LBB16_3:
	s_waitcnt lgkmcnt(0)
	s_load_dword s29, s[0:1], 0x0
	s_cbranch_execz .LBB16_7
	s_branch .LBB16_8
.LBB16_4:
	s_load_dword s28, s[8:9], 0x0
	s_load_dwordx2 s[0:1], s[4:5], 0x58
	s_cbranch_execnz .LBB16_2
.LBB16_5:
	s_waitcnt lgkmcnt(0)
	s_mov_b32 s28, s8
	s_and_b64 vcc, exec, s[2:3]
	s_cbranch_vccnz .LBB16_3
.LBB16_6:
                                        ; implicit-def: $sgpr29
.LBB16_7:
	s_waitcnt lgkmcnt(0)
	s_mov_b32 s29, s0
.LBB16_8:
	s_waitcnt lgkmcnt(0)
	s_cmp_eq_u32 s28, 0
	s_cselect_b64 s[0:1], -1, 0
	s_cmp_eq_u32 s29, 1
	s_cselect_b64 s[2:3], -1, 0
	s_and_b64 s[0:1], s[0:1], s[2:3]
	s_and_b64 vcc, exec, s[0:1]
	s_cbranch_vccnz .LBB16_32
; %bb.9:
	s_load_dword s0, s[4:5], 0x88
	s_load_dwordx4 s[20:23], s[4:5], 0x0
	s_add_u32 s1, s4, 0x88
	s_addc_u32 s3, s5, 0
	v_mov_b32_e32 v5, 0
	s_waitcnt lgkmcnt(0)
	s_cmp_lt_u32 s6, s0
	s_cselect_b32 s2, 12, 18
	s_add_u32 s2, s1, s2
	s_addc_u32 s3, s3, 0
	global_load_ushort v2, v5, s[2:3]
	s_waitcnt vmcnt(0)
	v_mul_lo_u32 v1, s6, v2
	v_add_u32_e32 v1, v1, v0
	v_lshrrev_b32_e32 v4, 4, v1
	v_cmp_gt_i32_e32 vcc, s21, v4
	s_and_saveexec_b64 s[2:3], vcc
	s_cbranch_execz .LBB16_32
; %bb.10:
	v_mul_lo_u32 v2, s0, v2
	v_and_b32_e32 v17, 7, v1
	s_load_dwordx8 s[8:15], s[4:5], 0x28
	s_load_dwordx4 s[24:27], s[4:5], 0x60
	s_load_dwordx2 s[0:1], s[4:5], 0x48
	v_lshrrev_b32_e32 v0, 3, v0
	v_lshrrev_b32_e32 v16, 4, v2
	v_lshl_or_b32 v2, s7, 3, v17
	v_ashrrev_i32_e32 v3, 31, v2
	v_lshlrev_b64 v[6:7], 2, v[2:3]
	v_lshrrev_b32_e32 v12, 3, v1
	v_lshlrev_b32_e32 v18, 5, v0
	v_mul_u32_u24_e32 v0, 24, v0
	s_waitcnt lgkmcnt(0)
	v_mov_b32_e32 v8, s25
	v_add_co_u32_e32 v10, vcc, s24, v6
	v_bfe_u32 v13, v1, 3, 1
	v_or_b32_e32 v20, 0x100, v0
	v_mad_u64_u32 v[0:1], s[2:3], s26, v12, 0
	v_addc_co_u32_e32 v11, vcc, v8, v7, vcc
	v_mov_b32_e32 v6, s14
	v_mov_b32_e32 v7, s15
	v_mul_lo_u32 v14, s0, v3
	v_mul_lo_u32 v15, s1, v2
	v_mad_u64_u32 v[6:7], s[0:1], s0, v2, v[6:7]
	v_mad_u64_u32 v[8:9], s[0:1], s27, v12, v[1:2]
	v_cmp_gt_i32_e64 s[0:1], s22, v2
	v_add3_u32 v7, v15, v7, v14
	v_mul_lo_u32 v14, s26, v3
	v_mul_lo_u32 v15, s27, v2
	v_mad_u64_u32 v[2:3], s[2:3], s26, v2, 0
	v_mov_b32_e32 v1, v8
	v_lshlrev_b64 v[0:1], 2, v[0:1]
	v_add3_u32 v3, v3, v14, v15
	v_add_co_u32_e32 v8, vcc, v10, v0
	v_addc_co_u32_e32 v9, vcc, v11, v1, vcc
	v_lshlrev_b64 v[0:1], 2, v[2:3]
	s_cmp_lg_u32 s29, 0
	s_cselect_b64 s[4:5], -1, 0
	s_cmp_lg_u32 s16, 1
	v_mov_b32_e32 v2, s25
	v_add_co_u32_e32 v0, vcc, s24, v0
	s_cselect_b64 s[6:7], -1, 0
	s_cmp_eq_u32 s20, 0
	v_addc_co_u32_e32 v1, vcc, v2, v1, vcc
	v_lshlrev_b32_e32 v2, 2, v12
	v_add_co_u32_e32 v10, vcc, v0, v2
	s_cselect_b64 s[2:3], -1, 0
	v_addc_co_u32_e32 v11, vcc, 0, v1, vcc
	v_cndmask_b32_e64 v0, 0, 1, s[2:3]
	v_lshlrev_b32_e32 v0, v0, v13
	v_subrev_co_u32_e32 v21, vcc, s17, v17
	v_mul_u32_u24_e32 v25, 3, v17
	s_and_b64 s[2:3], s[2:3], exec
	v_subb_co_u32_e64 v22, s[2:3], 0, 0, vcc
	v_mov_b32_e32 v1, s13
	v_add_co_u32_e32 v23, vcc, s12, v0
	s_mov_b32 s23, s17
	v_lshl_or_b32 v19, v17, 2, v18
	s_cselect_b32 s16, 1, 2
	v_addc_co_u32_e32 v24, vcc, 0, v1, vcc
	s_mov_b64 s[12:13], 0
	v_add_u32_e32 v25, v20, v25
	s_mov_b32 s20, 0x5040100
	s_mov_b32 s22, 0xc0c0100
	;; [unrolled: 1-line block ×3, first 2 shown]
	s_branch .LBB16_12
.LBB16_11:                              ;   in Loop: Header=BB16_12 Depth=1
	s_or_b64 exec, exec, s[2:3]
	v_add_u32_e32 v4, v4, v16
	v_cmp_le_i32_e32 vcc, s21, v4
	s_or_b64 s[12:13], vcc, s[12:13]
	s_andn2_b64 exec, exec, s[12:13]
	s_cbranch_execz .LBB16_32
.LBB16_12:                              ; =>This Loop Header: Depth=1
                                        ;     Child Loop BB16_15 Depth 2
	v_lshlrev_b64 v[0:1], 3, v[4:5]
	v_mov_b32_e32 v2, s9
	v_add_co_u32_e32 v0, vcc, s8, v0
	v_addc_co_u32_e32 v1, vcc, v2, v1, vcc
	global_load_dwordx4 v[0:3], v[0:1], off
	v_mov_b32_e32 v26, 0
	s_waitcnt vmcnt(0)
	v_cmp_lt_i64_e32 vcc, v[0:1], v[2:3]
	s_and_saveexec_b64 s[14:15], vcc
	s_cbranch_execz .LBB16_20
; %bb.13:                               ;   in Loop: Header=BB16_12 Depth=1
	v_subrev_co_u32_e32 v2, vcc, s23, v2
	v_subbrev_co_u32_e32 v3, vcc, 0, v3, vcc
	v_subrev_co_u32_e32 v12, vcc, s23, v0
	v_subbrev_co_u32_e32 v13, vcc, 0, v1, vcc
	v_add_co_u32_e32 v0, vcc, v21, v0
	v_addc_co_u32_e32 v1, vcc, v22, v1, vcc
	v_lshlrev_b64 v[14:15], 2, v[0:1]
	v_mov_b32_e32 v1, s11
	v_add_co_u32_e32 v0, vcc, s10, v14
	v_addc_co_u32_e32 v1, vcc, v1, v15, vcc
	v_add_co_u32_e32 v14, vcc, v23, v14
	v_addc_co_u32_e32 v15, vcc, v24, v15, vcc
	v_mov_b32_e32 v26, 0
	s_mov_b64 s[18:19], 0
	s_branch .LBB16_15
.LBB16_14:                              ;   in Loop: Header=BB16_15 Depth=2
	s_or_b64 exec, exec, s[2:3]
	v_add_co_u32_e32 v12, vcc, 8, v12
	v_addc_co_u32_e32 v13, vcc, 0, v13, vcc
	v_cmp_ge_i64_e32 vcc, v[12:13], v[2:3]
	v_add_co_u32_e64 v0, s[2:3], 32, v0
	s_or_b64 s[18:19], vcc, s[18:19]
	v_add_co_u32_e32 v14, vcc, 32, v14
	v_addc_co_u32_e64 v1, s[2:3], 0, v1, s[2:3]
	v_addc_co_u32_e32 v15, vcc, 0, v15, vcc
	s_andn2_b64 exec, exec, s[18:19]
	s_cbranch_execz .LBB16_19
.LBB16_15:                              ;   Parent Loop BB16_12 Depth=1
                                        ; =>  This Inner Loop Header: Depth=2
	v_add_co_u32_e32 v27, vcc, v17, v12
	v_addc_co_u32_e32 v28, vcc, 0, v13, vcc
	v_cmp_lt_i64_e32 vcc, v[27:28], v[2:3]
	v_mov_b32_e32 v29, 0
	v_mov_b32_e32 v27, 0
	;; [unrolled: 1-line block ×3, first 2 shown]
	s_and_saveexec_b64 s[2:3], vcc
	s_cbranch_execz .LBB16_17
; %bb.16:                               ;   in Loop: Header=BB16_15 Depth=2
	global_load_dword v31, v[0:1], off
	v_add_co_u32_e32 v29, vcc, s16, v14
	v_addc_co_u32_e32 v30, vcc, 0, v15, vcc
	global_load_ubyte v27, v[14:15], off
	global_load_ubyte v28, v[29:30], off
	s_waitcnt vmcnt(2)
	v_subrev_u32_e32 v29, s17, v31
	v_lshlrev_b32_e32 v29, 1, v29
.LBB16_17:                              ;   in Loop: Header=BB16_15 Depth=2
	s_or_b64 exec, exec, s[2:3]
	ds_write_b32 v19, v29
	s_waitcnt vmcnt(1)
	ds_write_b8 v25, v27
	s_waitcnt vmcnt(0)
	ds_write_b8 v25, v28 offset:1
	s_waitcnt lgkmcnt(0)
	; wave barrier
	s_and_saveexec_b64 s[2:3], s[0:1]
	s_cbranch_execz .LBB16_14
; %bb.18:                               ;   in Loop: Header=BB16_15 Depth=2
	ds_read_b128 v[27:30], v18
	ds_read_b128 v[31:34], v18 offset:16
	s_waitcnt lgkmcnt(1)
	v_ashrrev_i32_e32 v36, 31, v27
	v_add_co_u32_e32 v35, vcc, v6, v27
	v_addc_co_u32_e32 v36, vcc, v7, v36, vcc
	v_ashrrev_i32_e32 v37, 31, v28
	v_add_co_u32_e32 v27, vcc, v6, v28
	v_addc_co_u32_e32 v28, vcc, v7, v37, vcc
	;; [unrolled: 3-line block ×4, first 2 shown]
	s_waitcnt lgkmcnt(0)
	v_ashrrev_i32_e32 v40, 31, v31
	v_add_co_u32_e32 v39, vcc, v6, v31
	v_addc_co_u32_e32 v40, vcc, v7, v40, vcc
	v_ashrrev_i32_e32 v41, 31, v32
	v_add_co_u32_e32 v31, vcc, v6, v32
	v_addc_co_u32_e32 v32, vcc, v7, v41, vcc
	;; [unrolled: 3-line block ×4, first 2 shown]
	global_load_ushort v43, v[35:36], off
	global_load_ushort v44, v[27:28], off
	;; [unrolled: 1-line block ×5, first 2 shown]
                                        ; kill: killed $vgpr35 killed $vgpr36
                                        ; kill: killed $vgpr27 killed $vgpr28
                                        ; kill: killed $vgpr37 killed $vgpr38
                                        ; kill: killed $vgpr29 killed $vgpr30
                                        ; kill: killed $vgpr39 killed $vgpr40
	s_nop 0
	global_load_ushort v27, v[31:32], off
	global_load_ushort v28, v[41:42], off
	global_load_ushort v29, v[33:34], off
	ds_read_u16 v30, v20
	ds_read_i8 v31, v20 offset:3
	ds_read_i8 v32, v20 offset:4
	ds_read_u16 v33, v20 offset:6
	ds_read_u16 v34, v20 offset:9
	;; [unrolled: 1-line block ×6, first 2 shown]
	s_waitcnt lgkmcnt(8)
	v_perm_b32 v30, v30, v30, s22
	s_waitcnt lgkmcnt(6)
	v_perm_b32 v31, v32, v31, s24
	v_or_b32_e32 v30, v31, v30
	s_waitcnt lgkmcnt(4)
	v_perm_b32 v32, v34, v33, s20
	s_waitcnt lgkmcnt(2)
	v_perm_b32 v33, v36, v35, s20
	s_waitcnt vmcnt(6)
	v_perm_b32 v31, v44, v43, s20
	v_dot4_i32_i8 v26, v31, v30, v26
	s_waitcnt vmcnt(4)
	v_perm_b32 v34, v46, v45, s20
	v_dot4_i32_i8 v26, v34, v32, v26
	s_waitcnt vmcnt(2)
	v_perm_b32 v27, v27, v47, s20
	v_dot4_i32_i8 v26, v27, v33, v26
	s_waitcnt vmcnt(0)
	v_perm_b32 v28, v29, v28, s20
	s_waitcnt lgkmcnt(0)
	v_perm_b32 v27, v38, v37, s20
	v_dot4_i32_i8 v26, v28, v27, v26
	s_branch .LBB16_14
.LBB16_19:                              ;   in Loop: Header=BB16_12 Depth=1
	s_or_b64 exec, exec, s[18:19]
.LBB16_20:                              ;   in Loop: Header=BB16_12 Depth=1
	s_or_b64 exec, exec, s[14:15]
	s_and_saveexec_b64 s[2:3], s[0:1]
	s_cbranch_execz .LBB16_11
; %bb.21:                               ;   in Loop: Header=BB16_12 Depth=1
	v_mul_lo_u32 v0, v26, s28
	s_mov_b64 s[14:15], -1
	s_and_b64 vcc, exec, s[4:5]
	s_cbranch_vccz .LBB16_27
; %bb.22:                               ;   in Loop: Header=BB16_12 Depth=1
	s_and_b64 vcc, exec, s[6:7]
	s_cbranch_vccz .LBB16_24
; %bb.23:                               ;   in Loop: Header=BB16_12 Depth=1
	global_load_dword v1, v[8:9], off
	s_waitcnt vmcnt(0)
	v_mad_u64_u32 v[1:2], s[14:15], v1, s29, v[0:1]
	s_mov_b64 s[14:15], 0
	global_store_dword v[8:9], v1, off
.LBB16_24:                              ;   in Loop: Header=BB16_12 Depth=1
	s_andn2_b64 vcc, exec, s[14:15]
	s_cbranch_vccnz .LBB16_26
; %bb.25:                               ;   in Loop: Header=BB16_12 Depth=1
	global_load_dword v1, v[10:11], off
	s_waitcnt vmcnt(0)
	v_mad_u64_u32 v[1:2], s[14:15], v1, s29, v[0:1]
	global_store_dword v[10:11], v1, off
.LBB16_26:                              ;   in Loop: Header=BB16_12 Depth=1
	s_mov_b64 s[14:15], 0
.LBB16_27:                              ;   in Loop: Header=BB16_12 Depth=1
	s_andn2_b64 vcc, exec, s[14:15]
	s_cbranch_vccnz .LBB16_11
; %bb.28:                               ;   in Loop: Header=BB16_12 Depth=1
	s_mov_b64 s[14:15], -1
	s_and_b64 vcc, exec, s[6:7]
	s_cbranch_vccz .LBB16_30
; %bb.29:                               ;   in Loop: Header=BB16_12 Depth=1
	global_store_dword v[8:9], v0, off
	s_mov_b64 s[14:15], 0
.LBB16_30:                              ;   in Loop: Header=BB16_12 Depth=1
	s_andn2_b64 vcc, exec, s[14:15]
	s_cbranch_vccnz .LBB16_11
; %bb.31:                               ;   in Loop: Header=BB16_12 Depth=1
	global_store_dword v[10:11], v0, off
	s_branch .LBB16_11
.LBB16_32:
	s_endpgm
	.section	.rodata,"a",@progbits
	.p2align	6, 0x0
	.amdhsa_kernel _ZN9rocsparseL29bsrmmnn_small_blockdim_kernelILj64ELj8ELj2EliaaiiEEv20rocsparse_direction_T3_S2_llNS_24const_host_device_scalarIT7_EEPKT2_PKS2_PKT4_PKT5_llS5_PT6_ll16rocsparse_order_21rocsparse_index_base_b
		.amdhsa_group_segment_fixed_size 448
		.amdhsa_private_segment_fixed_size 0
		.amdhsa_kernarg_size 392
		.amdhsa_user_sgpr_count 6
		.amdhsa_user_sgpr_private_segment_buffer 1
		.amdhsa_user_sgpr_dispatch_ptr 0
		.amdhsa_user_sgpr_queue_ptr 0
		.amdhsa_user_sgpr_kernarg_segment_ptr 1
		.amdhsa_user_sgpr_dispatch_id 0
		.amdhsa_user_sgpr_flat_scratch_init 0
		.amdhsa_user_sgpr_private_segment_size 0
		.amdhsa_uses_dynamic_stack 0
		.amdhsa_system_sgpr_private_segment_wavefront_offset 0
		.amdhsa_system_sgpr_workgroup_id_x 1
		.amdhsa_system_sgpr_workgroup_id_y 1
		.amdhsa_system_sgpr_workgroup_id_z 0
		.amdhsa_system_sgpr_workgroup_info 0
		.amdhsa_system_vgpr_workitem_id 0
		.amdhsa_next_free_vgpr 48
		.amdhsa_next_free_sgpr 30
		.amdhsa_reserve_vcc 1
		.amdhsa_reserve_flat_scratch 0
		.amdhsa_float_round_mode_32 0
		.amdhsa_float_round_mode_16_64 0
		.amdhsa_float_denorm_mode_32 3
		.amdhsa_float_denorm_mode_16_64 3
		.amdhsa_dx10_clamp 1
		.amdhsa_ieee_mode 1
		.amdhsa_fp16_overflow 0
		.amdhsa_exception_fp_ieee_invalid_op 0
		.amdhsa_exception_fp_denorm_src 0
		.amdhsa_exception_fp_ieee_div_zero 0
		.amdhsa_exception_fp_ieee_overflow 0
		.amdhsa_exception_fp_ieee_underflow 0
		.amdhsa_exception_fp_ieee_inexact 0
		.amdhsa_exception_int_div_zero 0
	.end_amdhsa_kernel
	.section	.text._ZN9rocsparseL29bsrmmnn_small_blockdim_kernelILj64ELj8ELj2EliaaiiEEv20rocsparse_direction_T3_S2_llNS_24const_host_device_scalarIT7_EEPKT2_PKS2_PKT4_PKT5_llS5_PT6_ll16rocsparse_order_21rocsparse_index_base_b,"axG",@progbits,_ZN9rocsparseL29bsrmmnn_small_blockdim_kernelILj64ELj8ELj2EliaaiiEEv20rocsparse_direction_T3_S2_llNS_24const_host_device_scalarIT7_EEPKT2_PKS2_PKT4_PKT5_llS5_PT6_ll16rocsparse_order_21rocsparse_index_base_b,comdat
.Lfunc_end16:
	.size	_ZN9rocsparseL29bsrmmnn_small_blockdim_kernelILj64ELj8ELj2EliaaiiEEv20rocsparse_direction_T3_S2_llNS_24const_host_device_scalarIT7_EEPKT2_PKS2_PKT4_PKT5_llS5_PT6_ll16rocsparse_order_21rocsparse_index_base_b, .Lfunc_end16-_ZN9rocsparseL29bsrmmnn_small_blockdim_kernelILj64ELj8ELj2EliaaiiEEv20rocsparse_direction_T3_S2_llNS_24const_host_device_scalarIT7_EEPKT2_PKS2_PKT4_PKT5_llS5_PT6_ll16rocsparse_order_21rocsparse_index_base_b
                                        ; -- End function
	.set _ZN9rocsparseL29bsrmmnn_small_blockdim_kernelILj64ELj8ELj2EliaaiiEEv20rocsparse_direction_T3_S2_llNS_24const_host_device_scalarIT7_EEPKT2_PKS2_PKT4_PKT5_llS5_PT6_ll16rocsparse_order_21rocsparse_index_base_b.num_vgpr, 48
	.set _ZN9rocsparseL29bsrmmnn_small_blockdim_kernelILj64ELj8ELj2EliaaiiEEv20rocsparse_direction_T3_S2_llNS_24const_host_device_scalarIT7_EEPKT2_PKS2_PKT4_PKT5_llS5_PT6_ll16rocsparse_order_21rocsparse_index_base_b.num_agpr, 0
	.set _ZN9rocsparseL29bsrmmnn_small_blockdim_kernelILj64ELj8ELj2EliaaiiEEv20rocsparse_direction_T3_S2_llNS_24const_host_device_scalarIT7_EEPKT2_PKS2_PKT4_PKT5_llS5_PT6_ll16rocsparse_order_21rocsparse_index_base_b.numbered_sgpr, 30
	.set _ZN9rocsparseL29bsrmmnn_small_blockdim_kernelILj64ELj8ELj2EliaaiiEEv20rocsparse_direction_T3_S2_llNS_24const_host_device_scalarIT7_EEPKT2_PKS2_PKT4_PKT5_llS5_PT6_ll16rocsparse_order_21rocsparse_index_base_b.num_named_barrier, 0
	.set _ZN9rocsparseL29bsrmmnn_small_blockdim_kernelILj64ELj8ELj2EliaaiiEEv20rocsparse_direction_T3_S2_llNS_24const_host_device_scalarIT7_EEPKT2_PKS2_PKT4_PKT5_llS5_PT6_ll16rocsparse_order_21rocsparse_index_base_b.private_seg_size, 0
	.set _ZN9rocsparseL29bsrmmnn_small_blockdim_kernelILj64ELj8ELj2EliaaiiEEv20rocsparse_direction_T3_S2_llNS_24const_host_device_scalarIT7_EEPKT2_PKS2_PKT4_PKT5_llS5_PT6_ll16rocsparse_order_21rocsparse_index_base_b.uses_vcc, 1
	.set _ZN9rocsparseL29bsrmmnn_small_blockdim_kernelILj64ELj8ELj2EliaaiiEEv20rocsparse_direction_T3_S2_llNS_24const_host_device_scalarIT7_EEPKT2_PKS2_PKT4_PKT5_llS5_PT6_ll16rocsparse_order_21rocsparse_index_base_b.uses_flat_scratch, 0
	.set _ZN9rocsparseL29bsrmmnn_small_blockdim_kernelILj64ELj8ELj2EliaaiiEEv20rocsparse_direction_T3_S2_llNS_24const_host_device_scalarIT7_EEPKT2_PKS2_PKT4_PKT5_llS5_PT6_ll16rocsparse_order_21rocsparse_index_base_b.has_dyn_sized_stack, 0
	.set _ZN9rocsparseL29bsrmmnn_small_blockdim_kernelILj64ELj8ELj2EliaaiiEEv20rocsparse_direction_T3_S2_llNS_24const_host_device_scalarIT7_EEPKT2_PKS2_PKT4_PKT5_llS5_PT6_ll16rocsparse_order_21rocsparse_index_base_b.has_recursion, 0
	.set _ZN9rocsparseL29bsrmmnn_small_blockdim_kernelILj64ELj8ELj2EliaaiiEEv20rocsparse_direction_T3_S2_llNS_24const_host_device_scalarIT7_EEPKT2_PKS2_PKT4_PKT5_llS5_PT6_ll16rocsparse_order_21rocsparse_index_base_b.has_indirect_call, 0
	.section	.AMDGPU.csdata,"",@progbits
; Kernel info:
; codeLenInByte = 1524
; TotalNumSgprs: 34
; NumVgprs: 48
; ScratchSize: 0
; MemoryBound: 0
; FloatMode: 240
; IeeeMode: 1
; LDSByteSize: 448 bytes/workgroup (compile time only)
; SGPRBlocks: 4
; VGPRBlocks: 11
; NumSGPRsForWavesPerEU: 34
; NumVGPRsForWavesPerEU: 48
; Occupancy: 5
; WaveLimiterHint : 0
; COMPUTE_PGM_RSRC2:SCRATCH_EN: 0
; COMPUTE_PGM_RSRC2:USER_SGPR: 6
; COMPUTE_PGM_RSRC2:TRAP_HANDLER: 0
; COMPUTE_PGM_RSRC2:TGID_X_EN: 1
; COMPUTE_PGM_RSRC2:TGID_Y_EN: 1
; COMPUTE_PGM_RSRC2:TGID_Z_EN: 0
; COMPUTE_PGM_RSRC2:TIDIG_COMP_CNT: 0
	.section	.text._ZN9rocsparseL29bsrmmnn_small_blockdim_kernelILj64ELj8ELj2EllaaiiEEv20rocsparse_direction_T3_S2_llNS_24const_host_device_scalarIT7_EEPKT2_PKS2_PKT4_PKT5_llS5_PT6_ll16rocsparse_order_21rocsparse_index_base_b,"axG",@progbits,_ZN9rocsparseL29bsrmmnn_small_blockdim_kernelILj64ELj8ELj2EllaaiiEEv20rocsparse_direction_T3_S2_llNS_24const_host_device_scalarIT7_EEPKT2_PKS2_PKT4_PKT5_llS5_PT6_ll16rocsparse_order_21rocsparse_index_base_b,comdat
	.globl	_ZN9rocsparseL29bsrmmnn_small_blockdim_kernelILj64ELj8ELj2EllaaiiEEv20rocsparse_direction_T3_S2_llNS_24const_host_device_scalarIT7_EEPKT2_PKS2_PKT4_PKT5_llS5_PT6_ll16rocsparse_order_21rocsparse_index_base_b ; -- Begin function _ZN9rocsparseL29bsrmmnn_small_blockdim_kernelILj64ELj8ELj2EllaaiiEEv20rocsparse_direction_T3_S2_llNS_24const_host_device_scalarIT7_EEPKT2_PKS2_PKT4_PKT5_llS5_PT6_ll16rocsparse_order_21rocsparse_index_base_b
	.p2align	8
	.type	_ZN9rocsparseL29bsrmmnn_small_blockdim_kernelILj64ELj8ELj2EllaaiiEEv20rocsparse_direction_T3_S2_llNS_24const_host_device_scalarIT7_EEPKT2_PKS2_PKT4_PKT5_llS5_PT6_ll16rocsparse_order_21rocsparse_index_base_b,@function
_ZN9rocsparseL29bsrmmnn_small_blockdim_kernelILj64ELj8ELj2EllaaiiEEv20rocsparse_direction_T3_S2_llNS_24const_host_device_scalarIT7_EEPKT2_PKS2_PKT4_PKT5_llS5_PT6_ll16rocsparse_order_21rocsparse_index_base_b: ; @_ZN9rocsparseL29bsrmmnn_small_blockdim_kernelILj64ELj8ELj2EllaaiiEEv20rocsparse_direction_T3_S2_llNS_24const_host_device_scalarIT7_EEPKT2_PKS2_PKT4_PKT5_llS5_PT6_ll16rocsparse_order_21rocsparse_index_base_b
; %bb.0:
	s_load_dwordx4 s[20:23], s[4:5], 0x80
	s_load_dwordx2 s[8:9], s[4:5], 0x28
	s_mov_b64 s[10:11], -1
	s_waitcnt lgkmcnt(0)
	s_bitcmp1_b32 s22, 0
	s_cselect_b64 s[0:1], -1, 0
	s_xor_b64 s[2:3], s[0:1], -1
	s_and_b64 vcc, exec, s[2:3]
                                        ; implicit-def: $sgpr22
	s_cbranch_vccnz .LBB17_4
; %bb.1:
	s_load_dwordx2 s[0:1], s[4:5], 0x60
	s_andn2_b64 vcc, exec, s[10:11]
	s_cbranch_vccz .LBB17_5
.LBB17_2:
	s_and_b64 vcc, exec, s[2:3]
	s_cbranch_vccz .LBB17_6
.LBB17_3:
	s_waitcnt lgkmcnt(0)
	s_load_dword s23, s[0:1], 0x0
	s_cbranch_execz .LBB17_7
	s_branch .LBB17_8
.LBB17_4:
	s_load_dword s22, s[8:9], 0x0
	s_load_dwordx2 s[0:1], s[4:5], 0x60
	s_cbranch_execnz .LBB17_2
.LBB17_5:
	s_waitcnt lgkmcnt(0)
	s_mov_b32 s22, s8
	s_and_b64 vcc, exec, s[2:3]
	s_cbranch_vccnz .LBB17_3
.LBB17_6:
                                        ; implicit-def: $sgpr23
.LBB17_7:
	s_waitcnt lgkmcnt(0)
	s_mov_b32 s23, s0
.LBB17_8:
	s_waitcnt lgkmcnt(0)
	s_cmp_eq_u32 s22, 0
	s_cselect_b64 s[0:1], -1, 0
	s_cmp_eq_u32 s23, 1
	s_cselect_b64 s[2:3], -1, 0
	s_and_b64 s[0:1], s[0:1], s[2:3]
	s_and_b64 vcc, exec, s[0:1]
	s_cbranch_vccnz .LBB17_32
; %bb.9:
	s_load_dword s0, s[4:5], 0x90
	s_load_dwordx4 s[16:19], s[4:5], 0x8
	s_add_u32 s1, s4, 0x90
	s_addc_u32 s3, s5, 0
	v_mov_b32_e32 v5, 0
	s_waitcnt lgkmcnt(0)
	s_cmp_lt_u32 s6, s0
	s_cselect_b32 s2, 12, 18
	s_add_u32 s2, s1, s2
	s_addc_u32 s3, s3, 0
	global_load_ushort v2, v5, s[2:3]
	s_waitcnt vmcnt(0)
	v_mul_lo_u32 v1, s6, v2
	v_add_u32_e32 v1, v1, v0
	v_lshrrev_b32_e32 v4, 4, v1
	v_cmp_gt_i64_e32 vcc, s[16:17], v[4:5]
	s_and_saveexec_b64 s[2:3], vcc
	s_cbranch_execz .LBB17_32
; %bb.10:
	v_mul_lo_u32 v2, s0, v2
	s_load_dwordx4 s[24:27], s[4:5], 0x68
	s_load_dwordx2 s[2:3], s[4:5], 0x50
	v_and_b32_e32 v17, 7, v1
	v_mov_b32_e32 v3, v5
	v_lshrrev_b32_e32 v18, 4, v2
	v_lshl_or_b32 v2, s7, 3, v17
	v_lshlrev_b64 v[6:7], 2, v[2:3]
	s_waitcnt lgkmcnt(0)
	v_mov_b32_e32 v8, s25
	v_add_co_u32_e32 v10, vcc, s24, v6
	v_lshrrev_b32_e32 v14, 3, v1
	v_addc_co_u32_e32 v11, vcc, v8, v7, vcc
	v_bfe_u32 v12, v1, 3, 1
	v_lshrrev_b32_e32 v8, 3, v0
	v_mad_u64_u32 v[0:1], s[0:1], v14, s26, 0
	v_lshlrev_b32_e32 v19, 6, v8
	s_load_dwordx8 s[8:15], s[4:5], 0x30
	v_mad_u64_u32 v[6:7], s[0:1], v14, s27, v[1:2]
	v_mul_u32_u24_e32 v1, 24, v8
	v_mad_u64_u32 v[8:9], s[0:1], s26, v2, 0
	v_or_b32_e32 v21, 0x200, v1
	v_mov_b32_e32 v1, v6
	v_lshlrev_b64 v[0:1], 2, v[0:1]
	s_load_dword s4, s[4:5], 0x0
	v_add_co_u32_e32 v6, vcc, v10, v0
	v_mov_b32_e32 v0, v9
	v_addc_co_u32_e32 v7, vcc, v11, v1, vcc
	v_mad_u64_u32 v[0:1], s[0:1], s27, v2, v[0:1]
	v_cmp_gt_i64_e64 s[0:1], s[18:19], v[2:3]
	v_mov_b32_e32 v1, s25
	v_mov_b32_e32 v9, v0
	v_lshlrev_b32_e32 v0, 2, v14
	v_add_co_u32_e32 v3, vcc, s24, v0
	v_addc_co_u32_e32 v10, vcc, 0, v1, vcc
	v_lshlrev_b64 v[0:1], 2, v[8:9]
	s_waitcnt lgkmcnt(0)
	s_cmp_eq_u32 s4, 0
	v_add_co_u32_e32 v8, vcc, v3, v0
	v_addc_co_u32_e32 v9, vcc, v10, v1, vcc
	v_mov_b32_e32 v0, s14
	v_mov_b32_e32 v1, s15
	v_mad_u64_u32 v[10:11], s[4:5], s2, v2, v[0:1]
	s_cselect_b64 s[30:31], -1, 0
	v_mov_b32_e32 v13, v5
	v_mov_b32_e32 v0, v11
	v_mad_u64_u32 v[0:1], s[2:3], s3, v2, v[0:1]
	v_cndmask_b32_e64 v1, 0, 1, s[30:31]
	v_lshlrev_b64 v[1:2], v1, v[12:13]
	s_cmp_lg_u32 s23, 0
	v_mov_b32_e32 v22, v0
	v_mov_b32_e32 v0, s13
	v_add_co_u32_e32 v23, vcc, s12, v1
	s_cselect_b64 s[4:5], -1, 0
	s_cmp_lg_u32 s20, 1
	v_addc_co_u32_e32 v24, vcc, v0, v2, vcc
	v_mul_u32_u24_e32 v15, 3, v17
	s_cselect_b64 s[6:7], -1, 0
	s_and_b64 s[2:3], s[30:31], exec
	v_subrev_co_u32_e32 v25, vcc, s21, v17
	s_mov_b32 s28, s21
	v_lshl_or_b32 v20, v17, 3, v19
	s_cselect_b32 s20, 1, 2
	v_subb_co_u32_e64 v26, s[2:3], 0, 0, vcc
	s_mov_b64 s[12:13], 0
	v_add_u32_e32 v27, v21, v15
	s_mov_b32 s21, 0x5040100
	s_mov_b32 s24, 0xc0c0703
	;; [unrolled: 1-line block ×7, first 2 shown]
	s_branch .LBB17_12
.LBB17_11:                              ;   in Loop: Header=BB17_12 Depth=1
	s_or_b64 exec, exec, s[2:3]
	v_add_co_u32_e32 v4, vcc, v4, v18
	v_addc_co_u32_e32 v5, vcc, 0, v5, vcc
	v_cmp_le_i64_e32 vcc, s[16:17], v[4:5]
	s_or_b64 s[12:13], vcc, s[12:13]
	s_andn2_b64 exec, exec, s[12:13]
	s_cbranch_execz .LBB17_32
.LBB17_12:                              ; =>This Loop Header: Depth=1
                                        ;     Child Loop BB17_15 Depth 2
	v_lshlrev_b64 v[0:1], 3, v[4:5]
	v_mov_b32_e32 v2, s9
	v_add_co_u32_e32 v0, vcc, s8, v0
	v_addc_co_u32_e32 v1, vcc, v2, v1, vcc
	global_load_dwordx4 v[0:3], v[0:1], off
	v_mov_b32_e32 v28, 0
	s_waitcnt vmcnt(0)
	v_cmp_lt_i64_e32 vcc, v[0:1], v[2:3]
	s_and_saveexec_b64 s[14:15], vcc
	s_cbranch_execz .LBB17_20
; %bb.13:                               ;   in Loop: Header=BB17_12 Depth=1
	v_subrev_co_u32_e32 v2, vcc, s28, v2
	v_subbrev_co_u32_e32 v3, vcc, 0, v3, vcc
	v_subrev_co_u32_e32 v11, vcc, s28, v0
	v_subbrev_co_u32_e32 v12, vcc, 0, v1, vcc
	v_add_co_u32_e32 v13, vcc, v25, v0
	v_addc_co_u32_e32 v14, vcc, v26, v1, vcc
	v_lshlrev_b64 v[0:1], 3, v[13:14]
	v_mov_b32_e32 v15, s11
	v_add_co_u32_e32 v0, vcc, s10, v0
	v_lshlrev_b64 v[13:14], 2, v[13:14]
	v_addc_co_u32_e32 v1, vcc, v15, v1, vcc
	v_add_co_u32_e32 v13, vcc, v23, v13
	v_addc_co_u32_e32 v14, vcc, v24, v14, vcc
	v_mov_b32_e32 v28, 0
	s_mov_b64 s[18:19], 0
	s_branch .LBB17_15
.LBB17_14:                              ;   in Loop: Header=BB17_15 Depth=2
	s_or_b64 exec, exec, s[2:3]
	v_add_co_u32_e32 v11, vcc, 8, v11
	v_addc_co_u32_e32 v12, vcc, 0, v12, vcc
	v_cmp_ge_i64_e32 vcc, v[11:12], v[2:3]
	v_add_co_u32_e64 v0, s[2:3], 64, v0
	s_or_b64 s[18:19], vcc, s[18:19]
	v_add_co_u32_e32 v13, vcc, 32, v13
	v_addc_co_u32_e64 v1, s[2:3], 0, v1, s[2:3]
	v_addc_co_u32_e32 v14, vcc, 0, v14, vcc
	s_andn2_b64 exec, exec, s[18:19]
	s_cbranch_execz .LBB17_19
.LBB17_15:                              ;   Parent Loop BB17_12 Depth=1
                                        ; =>  This Inner Loop Header: Depth=2
	v_add_co_u32_e32 v15, vcc, v17, v11
	v_addc_co_u32_e32 v16, vcc, 0, v12, vcc
	v_cmp_lt_i64_e32 vcc, v[15:16], v[2:3]
	v_mov_b32_e32 v15, 0
	v_mov_b32_e32 v16, 0
	;; [unrolled: 1-line block ×4, first 2 shown]
	s_and_saveexec_b64 s[2:3], vcc
	s_cbranch_execz .LBB17_17
; %bb.16:                               ;   in Loop: Header=BB17_15 Depth=2
	global_load_dwordx2 v[15:16], v[0:1], off
	v_add_co_u32_e32 v31, vcc, s20, v13
	v_addc_co_u32_e32 v32, vcc, 0, v14, vcc
	global_load_ubyte v29, v[13:14], off
	global_load_ubyte v30, v[31:32], off
	s_waitcnt vmcnt(2)
	v_subrev_co_u32_e32 v15, vcc, s28, v15
	v_subbrev_co_u32_e32 v16, vcc, 0, v16, vcc
	v_lshlrev_b64 v[15:16], 1, v[15:16]
.LBB17_17:                              ;   in Loop: Header=BB17_15 Depth=2
	s_or_b64 exec, exec, s[2:3]
	ds_write_b64 v20, v[15:16]
	s_waitcnt vmcnt(1)
	ds_write_b8 v27, v29
	s_waitcnt vmcnt(0)
	ds_write_b8 v27, v30 offset:1
	s_waitcnt lgkmcnt(0)
	; wave barrier
	s_and_saveexec_b64 s[2:3], s[0:1]
	s_cbranch_execz .LBB17_14
; %bb.18:                               ;   in Loop: Header=BB17_15 Depth=2
	ds_read_b128 v[29:32], v19
	ds_read_b128 v[33:36], v19 offset:16
	ds_read_b128 v[37:40], v19 offset:32
	ds_read_b128 v[41:44], v19 offset:48
	s_waitcnt lgkmcnt(3)
	v_add_co_u32_e32 v15, vcc, v10, v29
	v_addc_co_u32_e32 v16, vcc, v22, v30, vcc
	v_add_co_u32_e32 v29, vcc, v10, v31
	v_addc_co_u32_e32 v30, vcc, v22, v32, vcc
	s_waitcnt lgkmcnt(2)
	v_add_co_u32_e32 v31, vcc, v10, v33
	v_addc_co_u32_e32 v32, vcc, v22, v34, vcc
	v_add_co_u32_e32 v33, vcc, v10, v35
	v_addc_co_u32_e32 v34, vcc, v22, v36, vcc
	;; [unrolled: 5-line block ×4, first 2 shown]
	global_load_ushort v43, v[15:16], off
	global_load_ushort v44, v[29:30], off
	;; [unrolled: 1-line block ×8, first 2 shown]
	ds_read_u16 v15, v21
	ds_read_u16 v16, v21 offset:3
	ds_read_u16 v29, v21 offset:6
	ds_read_u16 v30, v21 offset:9
	ds_read_u16 v31, v21 offset:12
	ds_read_u16 v32, v21 offset:15
	ds_read_u16 v33, v21 offset:18
	ds_read_u16 v34, v21 offset:21
	s_waitcnt lgkmcnt(6)
	v_perm_b32 v16, v16, v15, s21
	s_waitcnt lgkmcnt(4)
	v_perm_b32 v30, v30, v29, s21
	;; [unrolled: 2-line block ×3, first 2 shown]
	v_perm_b32 v15, v15, v29, s26
	s_waitcnt lgkmcnt(0)
	v_perm_b32 v34, v34, v33, s21
	v_perm_b32 v29, v33, v31, s27
	;; [unrolled: 1-line block ×4, first 2 shown]
	v_or_b32_e32 v15, v29, v15
	v_perm_b32 v29, v16, v30, s29
	v_perm_b32 v35, v34, v32, s30
	v_or_b32_e32 v31, v33, v31
	v_or_b32_e32 v29, v35, v29
	s_waitcnt vmcnt(6)
	v_perm_b32 v33, v44, v43, s21
	s_waitcnt vmcnt(5)
	v_perm_b32 v38, v43, v45, s26
	;; [unrolled: 2-line block ×3, first 2 shown]
	v_mul_i32_i24_sdwa v16, sext(v33), sext(v16) dst_sel:DWORD dst_unused:UNUSED_PAD src0_sel:BYTE_0 src1_sel:BYTE_0
	s_waitcnt vmcnt(2)
	v_perm_b32 v36, v48, v47, s21
	s_waitcnt vmcnt(1)
	v_perm_b32 v39, v49, v47, s27
	;; [unrolled: 2-line block ×3, first 2 shown]
	v_mul_i32_i24_sdwa v30, sext(v35), sext(v30) dst_sel:DWORD dst_unused:UNUSED_PAD src0_sel:BYTE_0 src1_sel:BYTE_0
	v_mul_i32_i24_sdwa v32, sext(v36), sext(v32) dst_sel:DWORD dst_unused:UNUSED_PAD src0_sel:BYTE_0 src1_sel:BYTE_0
	v_perm_b32 v40, v33, v35, s24
	v_perm_b32 v41, v37, v36, s25
	;; [unrolled: 1-line block ×4, first 2 shown]
	v_or_b32_e32 v38, v39, v38
	v_add3_u32 v16, v16, v30, v32
	v_or_b32_e32 v30, v41, v40
	v_or_b32_e32 v32, v35, v33
	v_mul_i32_i24_sdwa v34, sext(v37), sext(v34) dst_sel:DWORD dst_unused:UNUSED_PAD src0_sel:BYTE_0 src1_sel:BYTE_0
	v_dot4_i32_i8 v15, v38, v15, 0
	v_dot4_i32_i8 v30, v30, v31, 0
	;; [unrolled: 1-line block ×3, first 2 shown]
	v_add3_u32 v16, v16, v34, v29
	v_add_u32_e32 v15, v15, v30
	v_add3_u32 v28, v16, v15, v28
	s_branch .LBB17_14
.LBB17_19:                              ;   in Loop: Header=BB17_12 Depth=1
	s_or_b64 exec, exec, s[18:19]
.LBB17_20:                              ;   in Loop: Header=BB17_12 Depth=1
	s_or_b64 exec, exec, s[14:15]
	s_and_saveexec_b64 s[2:3], s[0:1]
	s_cbranch_execz .LBB17_11
; %bb.21:                               ;   in Loop: Header=BB17_12 Depth=1
	v_mul_lo_u32 v0, v28, s22
	s_mov_b64 s[14:15], -1
	s_and_b64 vcc, exec, s[4:5]
	s_cbranch_vccz .LBB17_27
; %bb.22:                               ;   in Loop: Header=BB17_12 Depth=1
	s_and_b64 vcc, exec, s[6:7]
	s_cbranch_vccz .LBB17_24
; %bb.23:                               ;   in Loop: Header=BB17_12 Depth=1
	global_load_dword v1, v[6:7], off
	s_waitcnt vmcnt(0)
	v_mad_u64_u32 v[1:2], s[14:15], v1, s23, v[0:1]
	s_mov_b64 s[14:15], 0
	global_store_dword v[6:7], v1, off
.LBB17_24:                              ;   in Loop: Header=BB17_12 Depth=1
	s_andn2_b64 vcc, exec, s[14:15]
	s_cbranch_vccnz .LBB17_26
; %bb.25:                               ;   in Loop: Header=BB17_12 Depth=1
	global_load_dword v1, v[8:9], off
	s_waitcnt vmcnt(0)
	v_mad_u64_u32 v[1:2], s[14:15], v1, s23, v[0:1]
	global_store_dword v[8:9], v1, off
.LBB17_26:                              ;   in Loop: Header=BB17_12 Depth=1
	s_mov_b64 s[14:15], 0
.LBB17_27:                              ;   in Loop: Header=BB17_12 Depth=1
	s_andn2_b64 vcc, exec, s[14:15]
	s_cbranch_vccnz .LBB17_11
; %bb.28:                               ;   in Loop: Header=BB17_12 Depth=1
	s_mov_b64 s[14:15], -1
	s_and_b64 vcc, exec, s[6:7]
	s_cbranch_vccz .LBB17_30
; %bb.29:                               ;   in Loop: Header=BB17_12 Depth=1
	global_store_dword v[6:7], v0, off
	s_mov_b64 s[14:15], 0
.LBB17_30:                              ;   in Loop: Header=BB17_12 Depth=1
	s_andn2_b64 vcc, exec, s[14:15]
	s_cbranch_vccnz .LBB17_11
; %bb.31:                               ;   in Loop: Header=BB17_12 Depth=1
	global_store_dword v[8:9], v0, off
	s_branch .LBB17_11
.LBB17_32:
	s_endpgm
	.section	.rodata,"a",@progbits
	.p2align	6, 0x0
	.amdhsa_kernel _ZN9rocsparseL29bsrmmnn_small_blockdim_kernelILj64ELj8ELj2EllaaiiEEv20rocsparse_direction_T3_S2_llNS_24const_host_device_scalarIT7_EEPKT2_PKS2_PKT4_PKT5_llS5_PT6_ll16rocsparse_order_21rocsparse_index_base_b
		.amdhsa_group_segment_fixed_size 704
		.amdhsa_private_segment_fixed_size 0
		.amdhsa_kernarg_size 400
		.amdhsa_user_sgpr_count 6
		.amdhsa_user_sgpr_private_segment_buffer 1
		.amdhsa_user_sgpr_dispatch_ptr 0
		.amdhsa_user_sgpr_queue_ptr 0
		.amdhsa_user_sgpr_kernarg_segment_ptr 1
		.amdhsa_user_sgpr_dispatch_id 0
		.amdhsa_user_sgpr_flat_scratch_init 0
		.amdhsa_user_sgpr_private_segment_size 0
		.amdhsa_uses_dynamic_stack 0
		.amdhsa_system_sgpr_private_segment_wavefront_offset 0
		.amdhsa_system_sgpr_workgroup_id_x 1
		.amdhsa_system_sgpr_workgroup_id_y 1
		.amdhsa_system_sgpr_workgroup_id_z 0
		.amdhsa_system_sgpr_workgroup_info 0
		.amdhsa_system_vgpr_workitem_id 0
		.amdhsa_next_free_vgpr 51
		.amdhsa_next_free_sgpr 32
		.amdhsa_reserve_vcc 1
		.amdhsa_reserve_flat_scratch 0
		.amdhsa_float_round_mode_32 0
		.amdhsa_float_round_mode_16_64 0
		.amdhsa_float_denorm_mode_32 3
		.amdhsa_float_denorm_mode_16_64 3
		.amdhsa_dx10_clamp 1
		.amdhsa_ieee_mode 1
		.amdhsa_fp16_overflow 0
		.amdhsa_exception_fp_ieee_invalid_op 0
		.amdhsa_exception_fp_denorm_src 0
		.amdhsa_exception_fp_ieee_div_zero 0
		.amdhsa_exception_fp_ieee_overflow 0
		.amdhsa_exception_fp_ieee_underflow 0
		.amdhsa_exception_fp_ieee_inexact 0
		.amdhsa_exception_int_div_zero 0
	.end_amdhsa_kernel
	.section	.text._ZN9rocsparseL29bsrmmnn_small_blockdim_kernelILj64ELj8ELj2EllaaiiEEv20rocsparse_direction_T3_S2_llNS_24const_host_device_scalarIT7_EEPKT2_PKS2_PKT4_PKT5_llS5_PT6_ll16rocsparse_order_21rocsparse_index_base_b,"axG",@progbits,_ZN9rocsparseL29bsrmmnn_small_blockdim_kernelILj64ELj8ELj2EllaaiiEEv20rocsparse_direction_T3_S2_llNS_24const_host_device_scalarIT7_EEPKT2_PKS2_PKT4_PKT5_llS5_PT6_ll16rocsparse_order_21rocsparse_index_base_b,comdat
.Lfunc_end17:
	.size	_ZN9rocsparseL29bsrmmnn_small_blockdim_kernelILj64ELj8ELj2EllaaiiEEv20rocsparse_direction_T3_S2_llNS_24const_host_device_scalarIT7_EEPKT2_PKS2_PKT4_PKT5_llS5_PT6_ll16rocsparse_order_21rocsparse_index_base_b, .Lfunc_end17-_ZN9rocsparseL29bsrmmnn_small_blockdim_kernelILj64ELj8ELj2EllaaiiEEv20rocsparse_direction_T3_S2_llNS_24const_host_device_scalarIT7_EEPKT2_PKS2_PKT4_PKT5_llS5_PT6_ll16rocsparse_order_21rocsparse_index_base_b
                                        ; -- End function
	.set _ZN9rocsparseL29bsrmmnn_small_blockdim_kernelILj64ELj8ELj2EllaaiiEEv20rocsparse_direction_T3_S2_llNS_24const_host_device_scalarIT7_EEPKT2_PKS2_PKT4_PKT5_llS5_PT6_ll16rocsparse_order_21rocsparse_index_base_b.num_vgpr, 51
	.set _ZN9rocsparseL29bsrmmnn_small_blockdim_kernelILj64ELj8ELj2EllaaiiEEv20rocsparse_direction_T3_S2_llNS_24const_host_device_scalarIT7_EEPKT2_PKS2_PKT4_PKT5_llS5_PT6_ll16rocsparse_order_21rocsparse_index_base_b.num_agpr, 0
	.set _ZN9rocsparseL29bsrmmnn_small_blockdim_kernelILj64ELj8ELj2EllaaiiEEv20rocsparse_direction_T3_S2_llNS_24const_host_device_scalarIT7_EEPKT2_PKS2_PKT4_PKT5_llS5_PT6_ll16rocsparse_order_21rocsparse_index_base_b.numbered_sgpr, 32
	.set _ZN9rocsparseL29bsrmmnn_small_blockdim_kernelILj64ELj8ELj2EllaaiiEEv20rocsparse_direction_T3_S2_llNS_24const_host_device_scalarIT7_EEPKT2_PKS2_PKT4_PKT5_llS5_PT6_ll16rocsparse_order_21rocsparse_index_base_b.num_named_barrier, 0
	.set _ZN9rocsparseL29bsrmmnn_small_blockdim_kernelILj64ELj8ELj2EllaaiiEEv20rocsparse_direction_T3_S2_llNS_24const_host_device_scalarIT7_EEPKT2_PKS2_PKT4_PKT5_llS5_PT6_ll16rocsparse_order_21rocsparse_index_base_b.private_seg_size, 0
	.set _ZN9rocsparseL29bsrmmnn_small_blockdim_kernelILj64ELj8ELj2EllaaiiEEv20rocsparse_direction_T3_S2_llNS_24const_host_device_scalarIT7_EEPKT2_PKS2_PKT4_PKT5_llS5_PT6_ll16rocsparse_order_21rocsparse_index_base_b.uses_vcc, 1
	.set _ZN9rocsparseL29bsrmmnn_small_blockdim_kernelILj64ELj8ELj2EllaaiiEEv20rocsparse_direction_T3_S2_llNS_24const_host_device_scalarIT7_EEPKT2_PKS2_PKT4_PKT5_llS5_PT6_ll16rocsparse_order_21rocsparse_index_base_b.uses_flat_scratch, 0
	.set _ZN9rocsparseL29bsrmmnn_small_blockdim_kernelILj64ELj8ELj2EllaaiiEEv20rocsparse_direction_T3_S2_llNS_24const_host_device_scalarIT7_EEPKT2_PKS2_PKT4_PKT5_llS5_PT6_ll16rocsparse_order_21rocsparse_index_base_b.has_dyn_sized_stack, 0
	.set _ZN9rocsparseL29bsrmmnn_small_blockdim_kernelILj64ELj8ELj2EllaaiiEEv20rocsparse_direction_T3_S2_llNS_24const_host_device_scalarIT7_EEPKT2_PKS2_PKT4_PKT5_llS5_PT6_ll16rocsparse_order_21rocsparse_index_base_b.has_recursion, 0
	.set _ZN9rocsparseL29bsrmmnn_small_blockdim_kernelILj64ELj8ELj2EllaaiiEEv20rocsparse_direction_T3_S2_llNS_24const_host_device_scalarIT7_EEPKT2_PKS2_PKT4_PKT5_llS5_PT6_ll16rocsparse_order_21rocsparse_index_base_b.has_indirect_call, 0
	.section	.AMDGPU.csdata,"",@progbits
; Kernel info:
; codeLenInByte = 1728
; TotalNumSgprs: 36
; NumVgprs: 51
; ScratchSize: 0
; MemoryBound: 0
; FloatMode: 240
; IeeeMode: 1
; LDSByteSize: 704 bytes/workgroup (compile time only)
; SGPRBlocks: 4
; VGPRBlocks: 12
; NumSGPRsForWavesPerEU: 36
; NumVGPRsForWavesPerEU: 51
; Occupancy: 4
; WaveLimiterHint : 1
; COMPUTE_PGM_RSRC2:SCRATCH_EN: 0
; COMPUTE_PGM_RSRC2:USER_SGPR: 6
; COMPUTE_PGM_RSRC2:TRAP_HANDLER: 0
; COMPUTE_PGM_RSRC2:TGID_X_EN: 1
; COMPUTE_PGM_RSRC2:TGID_Y_EN: 1
; COMPUTE_PGM_RSRC2:TGID_Z_EN: 0
; COMPUTE_PGM_RSRC2:TIDIG_COMP_CNT: 0
	.section	.text._ZN9rocsparseL29bsrmmnn_small_blockdim_kernelILj64ELj8ELj2EiiaaffEEv20rocsparse_direction_T3_S2_llNS_24const_host_device_scalarIT7_EEPKT2_PKS2_PKT4_PKT5_llS5_PT6_ll16rocsparse_order_21rocsparse_index_base_b,"axG",@progbits,_ZN9rocsparseL29bsrmmnn_small_blockdim_kernelILj64ELj8ELj2EiiaaffEEv20rocsparse_direction_T3_S2_llNS_24const_host_device_scalarIT7_EEPKT2_PKS2_PKT4_PKT5_llS5_PT6_ll16rocsparse_order_21rocsparse_index_base_b,comdat
	.globl	_ZN9rocsparseL29bsrmmnn_small_blockdim_kernelILj64ELj8ELj2EiiaaffEEv20rocsparse_direction_T3_S2_llNS_24const_host_device_scalarIT7_EEPKT2_PKS2_PKT4_PKT5_llS5_PT6_ll16rocsparse_order_21rocsparse_index_base_b ; -- Begin function _ZN9rocsparseL29bsrmmnn_small_blockdim_kernelILj64ELj8ELj2EiiaaffEEv20rocsparse_direction_T3_S2_llNS_24const_host_device_scalarIT7_EEPKT2_PKS2_PKT4_PKT5_llS5_PT6_ll16rocsparse_order_21rocsparse_index_base_b
	.p2align	8
	.type	_ZN9rocsparseL29bsrmmnn_small_blockdim_kernelILj64ELj8ELj2EiiaaffEEv20rocsparse_direction_T3_S2_llNS_24const_host_device_scalarIT7_EEPKT2_PKS2_PKT4_PKT5_llS5_PT6_ll16rocsparse_order_21rocsparse_index_base_b,@function
_ZN9rocsparseL29bsrmmnn_small_blockdim_kernelILj64ELj8ELj2EiiaaffEEv20rocsparse_direction_T3_S2_llNS_24const_host_device_scalarIT7_EEPKT2_PKS2_PKT4_PKT5_llS5_PT6_ll16rocsparse_order_21rocsparse_index_base_b: ; @_ZN9rocsparseL29bsrmmnn_small_blockdim_kernelILj64ELj8ELj2EiiaaffEEv20rocsparse_direction_T3_S2_llNS_24const_host_device_scalarIT7_EEPKT2_PKS2_PKT4_PKT5_llS5_PT6_ll16rocsparse_order_21rocsparse_index_base_b
; %bb.0:
	s_load_dwordx4 s[16:19], s[4:5], 0x78
	s_load_dwordx2 s[28:29], s[4:5], 0x20
	s_load_dwordx2 s[30:31], s[4:5], 0x58
	s_waitcnt lgkmcnt(0)
	s_bitcmp1_b32 s18, 0
	s_cselect_b64 s[2:3], -1, 0
	s_xor_b64 s[0:1], s[2:3], -1
	s_and_b64 vcc, exec, s[2:3]
	s_cbranch_vccnz .LBB18_2
; %bb.1:
	s_load_dword s28, s[28:29], 0x0
.LBB18_2:
	s_andn2_b64 vcc, exec, s[0:1]
	s_cbranch_vccnz .LBB18_4
; %bb.3:
	s_load_dword s30, s[30:31], 0x0
.LBB18_4:
	s_waitcnt lgkmcnt(0)
	v_cmp_eq_f32_e64 s[0:1], s28, 0
	v_cmp_eq_f32_e64 s[2:3], s30, 1.0
	s_and_b64 s[0:1], s[0:1], s[2:3]
	s_and_b64 vcc, exec, s[0:1]
	s_cbranch_vccnz .LBB18_28
; %bb.5:
	s_load_dword s0, s[4:5], 0x88
	s_load_dwordx4 s[20:23], s[4:5], 0x0
	s_add_u32 s1, s4, 0x88
	s_addc_u32 s3, s5, 0
	v_mov_b32_e32 v2, 0
	s_waitcnt lgkmcnt(0)
	s_cmp_lt_u32 s6, s0
	s_cselect_b32 s2, 12, 18
	s_add_u32 s2, s1, s2
	s_addc_u32 s3, s3, 0
	global_load_ushort v4, v2, s[2:3]
	s_waitcnt vmcnt(0)
	v_mul_lo_u32 v1, s6, v4
	v_add_u32_e32 v3, v1, v0
	v_lshrrev_b32_e32 v1, 4, v3
	v_cmp_gt_i32_e32 vcc, s21, v1
	s_and_saveexec_b64 s[2:3], vcc
	s_cbranch_execz .LBB18_28
; %bb.6:
	v_mul_lo_u32 v4, s0, v4
	v_and_b32_e32 v11, 7, v3
	s_load_dwordx8 s[8:15], s[4:5], 0x28
	s_load_dwordx4 s[24:27], s[4:5], 0x60
	s_load_dwordx2 s[0:1], s[4:5], 0x48
	v_lshl_or_b32 v7, s7, 3, v11
	v_ashrrev_i32_e32 v8, 31, v7
	v_lshrrev_b32_e32 v12, 4, v4
	v_lshrrev_b32_e32 v15, 3, v3
	v_bfe_u32 v16, v3, 3, 1
	v_lshlrev_b64 v[3:4], 2, v[7:8]
	s_waitcnt lgkmcnt(0)
	v_mov_b32_e32 v5, s25
	v_add_co_u32_e32 v17, vcc, s24, v3
	v_addc_co_u32_e32 v18, vcc, v5, v4, vcc
	v_mov_b32_e32 v3, s14
	v_mov_b32_e32 v4, s15
	v_mul_lo_u32 v9, s0, v8
	v_mul_lo_u32 v10, s1, v7
	v_mad_u64_u32 v[3:4], s[0:1], s0, v7, v[3:4]
	v_mad_u64_u32 v[5:6], s[0:1], s26, v15, 0
	v_add3_u32 v4, v10, v4, v9
	v_lshrrev_b32_e32 v14, 3, v0
	v_mad_u64_u32 v[9:10], s[0:1], s27, v15, v[6:7]
	v_mul_u32_u24_e32 v6, 24, v14
	v_lshlrev_b32_e32 v0, 5, v14
	v_or_b32_e32 v14, 0x100, v6
	v_mov_b32_e32 v6, v9
	v_lshlrev_b64 v[5:6], 2, v[5:6]
	v_cmp_gt_i32_e64 s[0:1], s22, v7
	v_add_co_u32_e64 v5, s[2:3], v17, v5
	v_addc_co_u32_e64 v6, s[2:3], v18, v6, s[2:3]
	v_mul_lo_u32 v17, s26, v8
	v_mul_lo_u32 v18, s27, v7
	v_mad_u64_u32 v[7:8], s[2:3], s26, v7, 0
	v_lshlrev_b32_e32 v15, 2, v15
	s_cmp_eq_u32 s20, 0
	v_add3_u32 v8, v8, v17, v18
	v_lshlrev_b64 v[7:8], 2, v[7:8]
	v_mov_b32_e32 v17, s25
	v_add_co_u32_e64 v7, s[2:3], s24, v7
	v_addc_co_u32_e64 v8, s[2:3], v17, v8, s[2:3]
	v_lshlrev_b32_e32 v20, 1, v16
	v_add_co_u32_e64 v7, s[2:3], v7, v15
	v_or_b32_e32 v19, 2, v16
	s_cselect_b64 vcc, -1, 0
	v_mul_u32_u24_e32 v10, 3, v11
	v_or_b32_e32 v9, 1, v20
	s_cmp_lg_u32 s16, 1
	v_addc_co_u32_e64 v8, s[2:3], 0, v8, s[2:3]
	v_lshl_or_b32 v13, v11, 2, v0
	v_cmp_neq_f32_e64 s[4:5], s30, 0
	s_cselect_b64 s[6:7], -1, 0
	v_cndmask_b32_e32 v15, v16, v20, vcc
	v_cndmask_b32_e32 v16, v19, v9, vcc
	v_subrev_u32_e32 v17, s17, v11
	s_mov_b64 s[2:3], 0
	v_add_u32_e32 v18, v14, v10
	s_branch .LBB18_8
.LBB18_7:                               ;   in Loop: Header=BB18_8 Depth=1
	s_or_b64 exec, exec, s[14:15]
	v_add_u32_e32 v1, v1, v12
	v_cmp_le_i32_e32 vcc, s21, v1
	s_or_b64 s[2:3], vcc, s[2:3]
	s_andn2_b64 exec, exec, s[2:3]
	s_cbranch_execz .LBB18_28
.LBB18_8:                               ; =>This Loop Header: Depth=1
                                        ;     Child Loop BB18_11 Depth 2
	v_lshlrev_b64 v[9:10], 2, v[1:2]
	v_mov_b32_e32 v19, s9
	v_add_co_u32_e32 v9, vcc, s8, v9
	v_addc_co_u32_e32 v10, vcc, v19, v10, vcc
	global_load_dwordx2 v[9:10], v[9:10], off
	v_mov_b32_e32 v19, 0
	s_waitcnt vmcnt(0)
	v_cmp_lt_i32_e32 vcc, v9, v10
	s_and_saveexec_b64 s[14:15], vcc
	s_cbranch_execz .LBB18_16
; %bb.9:                                ;   in Loop: Header=BB18_8 Depth=1
	v_subrev_u32_e32 v21, s17, v9
	v_add_lshl_u32 v9, v17, v9, 2
	v_subrev_u32_e32 v20, s17, v10
	v_or_b32_e32 v22, v16, v9
	v_or_b32_e32 v23, v15, v9
	v_mov_b32_e32 v19, 0
	s_mov_b64 s[18:19], 0
	s_branch .LBB18_11
.LBB18_10:                              ;   in Loop: Header=BB18_11 Depth=2
	s_or_b64 exec, exec, s[22:23]
	v_add_u32_e32 v21, 8, v21
	v_cmp_ge_i32_e32 vcc, v21, v20
	v_add_u32_e32 v22, 32, v22
	s_or_b64 s[18:19], vcc, s[18:19]
	v_add_u32_e32 v23, 32, v23
	s_andn2_b64 exec, exec, s[18:19]
	s_cbranch_execz .LBB18_15
.LBB18_11:                              ;   Parent Loop BB18_8 Depth=1
                                        ; =>  This Inner Loop Header: Depth=2
	v_add_u32_e32 v9, v11, v21
	v_cmp_lt_i32_e32 vcc, v9, v20
	v_mov_b32_e32 v25, 0
	v_mov_b32_e32 v10, 0
	;; [unrolled: 1-line block ×3, first 2 shown]
	s_and_saveexec_b64 s[22:23], vcc
	s_cbranch_execz .LBB18_13
; %bb.12:                               ;   in Loop: Header=BB18_11 Depth=2
	v_ashrrev_i32_e32 v10, 31, v9
	v_lshlrev_b64 v[9:10], 2, v[9:10]
	v_mov_b32_e32 v24, s11
	v_add_co_u32_e32 v25, vcc, s10, v9
	v_addc_co_u32_e32 v26, vcc, v24, v10, vcc
	global_load_dword v9, v[25:26], off
	global_load_ubyte v10, v23, s[12:13]
	global_load_ubyte v24, v22, s[12:13]
	s_waitcnt vmcnt(2)
	v_subrev_u32_e32 v9, s17, v9
	v_lshlrev_b32_e32 v25, 1, v9
.LBB18_13:                              ;   in Loop: Header=BB18_11 Depth=2
	s_or_b64 exec, exec, s[22:23]
	ds_write_b32 v13, v25
	s_waitcnt vmcnt(1)
	ds_write_b8 v18, v10
	s_waitcnt vmcnt(0)
	ds_write_b8 v18, v24 offset:1
	s_waitcnt lgkmcnt(0)
	; wave barrier
	s_and_saveexec_b64 s[22:23], s[0:1]
	s_cbranch_execz .LBB18_10
; %bb.14:                               ;   in Loop: Header=BB18_11 Depth=2
	ds_read_b128 v[24:27], v0
	s_waitcnt lgkmcnt(0)
	v_ashrrev_i32_e32 v10, 31, v24
	v_add_co_u32_e32 v9, vcc, v3, v24
	v_addc_co_u32_e32 v10, vcc, v4, v10, vcc
	v_ashrrev_i32_e32 v24, 31, v25
	global_load_ushort v28, v[9:10], off
	v_add_co_u32_e32 v9, vcc, v3, v25
	v_addc_co_u32_e32 v10, vcc, v4, v24, vcc
	global_load_ushort v29, v[9:10], off
	v_ashrrev_i32_e32 v10, 31, v26
	v_add_co_u32_e32 v9, vcc, v3, v26
	v_addc_co_u32_e32 v10, vcc, v4, v10, vcc
	v_ashrrev_i32_e32 v24, 31, v27
	global_load_ushort v30, v[9:10], off
	v_add_co_u32_e32 v9, vcc, v3, v27
	v_addc_co_u32_e32 v10, vcc, v4, v24, vcc
	global_load_ushort v31, v[9:10], off
	ds_read_b128 v[24:27], v0 offset:16
	s_waitcnt lgkmcnt(0)
	v_ashrrev_i32_e32 v10, 31, v24
	v_add_co_u32_e32 v9, vcc, v3, v24
	v_addc_co_u32_e32 v10, vcc, v4, v10, vcc
	global_load_ushort v24, v[9:10], off
	v_ashrrev_i32_e32 v10, 31, v25
	v_add_co_u32_e32 v9, vcc, v3, v25
	v_addc_co_u32_e32 v10, vcc, v4, v10, vcc
	global_load_ushort v25, v[9:10], off
	;; [unrolled: 4-line block ×4, first 2 shown]
	ds_read_u16 v10, v14
	ds_read_i8 v27, v14 offset:3
	ds_read_i8 v32, v14 offset:4
	ds_read_u16 v33, v14 offset:6
	ds_read_i8 v34, v14 offset:9
	ds_read_i8 v35, v14 offset:10
	ds_read_u16 v36, v14 offset:12
	;; [unrolled: 3-line block ×3, first 2 shown]
	ds_read_i8 v40, v14 offset:21
	ds_read_i8 v41, v14 offset:22
	s_waitcnt lgkmcnt(11)
	v_bfe_i32 v42, v10, 0, 8
	v_ashrrev_i16_e32 v10, 8, v10
	v_cvt_f32_i32_sdwa v42, sext(v42) dst_sel:DWORD dst_unused:UNUSED_PAD src0_sel:WORD_0
	v_cvt_f32_i32_sdwa v10, sext(v10) dst_sel:DWORD dst_unused:UNUSED_PAD src0_sel:WORD_0
	s_waitcnt lgkmcnt(10)
	v_cvt_f32_i32_e32 v27, v27
	s_waitcnt lgkmcnt(9)
	v_cvt_f32_i32_e32 v32, v32
	s_waitcnt lgkmcnt(8)
	v_bfe_i32 v43, v33, 0, 8
	v_ashrrev_i16_e32 v33, 8, v33
	v_cvt_f32_i32_sdwa v43, sext(v43) dst_sel:DWORD dst_unused:UNUSED_PAD src0_sel:WORD_0
	v_cvt_f32_i32_sdwa v33, sext(v33) dst_sel:DWORD dst_unused:UNUSED_PAD src0_sel:WORD_0
	s_waitcnt lgkmcnt(7)
	v_cvt_f32_i32_e32 v34, v34
	s_waitcnt lgkmcnt(6)
	v_cvt_f32_i32_e32 v35, v35
	s_waitcnt lgkmcnt(5)
	v_bfe_i32 v44, v36, 0, 8
	v_ashrrev_i16_e32 v36, 8, v36
	s_waitcnt vmcnt(7)
	v_bfe_i32 v45, v28, 0, 8
	v_cvt_f32_i32_sdwa v45, sext(v45) dst_sel:DWORD dst_unused:UNUSED_PAD src0_sel:WORD_0
	v_ashrrev_i16_e32 v28, 8, v28
	v_cvt_f32_i32_sdwa v28, sext(v28) dst_sel:DWORD dst_unused:UNUSED_PAD src0_sel:WORD_0
	v_fmac_f32_e32 v19, v42, v45
	s_waitcnt vmcnt(6)
	v_bfe_i32 v42, v29, 0, 8
	v_ashrrev_i16_e32 v29, 8, v29
	v_fmac_f32_e32 v19, v10, v28
	v_cvt_f32_i32_sdwa v29, sext(v29) dst_sel:DWORD dst_unused:UNUSED_PAD src0_sel:WORD_0
	s_waitcnt vmcnt(5)
	v_bfe_i32 v45, v30, 0, 8
	v_ashrrev_i16_e32 v30, 8, v30
	v_cvt_f32_i32_sdwa v30, sext(v30) dst_sel:DWORD dst_unused:UNUSED_PAD src0_sel:WORD_0
	s_waitcnt vmcnt(4)
	v_bfe_i32 v10, v31, 0, 8
	v_ashrrev_i16_e32 v28, 8, v31
	v_cvt_f32_i32_sdwa v31, sext(v42) dst_sel:DWORD dst_unused:UNUSED_PAD src0_sel:WORD_0
	v_cvt_f32_i32_sdwa v42, sext(v45) dst_sel:DWORD dst_unused:UNUSED_PAD src0_sel:WORD_0
	;; [unrolled: 1-line block ×4, first 2 shown]
	v_fmac_f32_e32 v19, v27, v31
	v_fmac_f32_e32 v19, v32, v29
	;; [unrolled: 1-line block ×5, first 2 shown]
	s_waitcnt vmcnt(3)
	v_bfe_i32 v27, v24, 0, 8
	v_cvt_f32_i32_sdwa v10, sext(v44) dst_sel:DWORD dst_unused:UNUSED_PAD src0_sel:WORD_0
	v_ashrrev_i16_e32 v24, 8, v24
	v_cvt_f32_i32_sdwa v27, sext(v27) dst_sel:DWORD dst_unused:UNUSED_PAD src0_sel:WORD_0
	v_fmac_f32_e32 v19, v35, v28
	v_cvt_f32_i32_sdwa v28, sext(v36) dst_sel:DWORD dst_unused:UNUSED_PAD src0_sel:WORD_0
	v_cvt_f32_i32_sdwa v24, sext(v24) dst_sel:DWORD dst_unused:UNUSED_PAD src0_sel:WORD_0
	s_waitcnt vmcnt(2)
	v_bfe_i32 v30, v25, 0, 8
	s_waitcnt lgkmcnt(4)
	v_cvt_f32_i32_e32 v29, v37
	v_ashrrev_i16_e32 v25, 8, v25
	v_cvt_f32_i32_sdwa v30, sext(v30) dst_sel:DWORD dst_unused:UNUSED_PAD src0_sel:WORD_0
	s_waitcnt lgkmcnt(3)
	v_cvt_f32_i32_e32 v31, v38
	v_cvt_f32_i32_sdwa v25, sext(v25) dst_sel:DWORD dst_unused:UNUSED_PAD src0_sel:WORD_0
	v_fmac_f32_e32 v19, v10, v27
	v_fmac_f32_e32 v19, v28, v24
	;; [unrolled: 1-line block ×4, first 2 shown]
	s_waitcnt lgkmcnt(2)
	v_bfe_i32 v10, v39, 0, 8
	s_waitcnt vmcnt(1)
	v_bfe_i32 v25, v26, 0, 8
	v_ashrrev_i16_e32 v24, 8, v39
	v_cvt_f32_i32_sdwa v10, sext(v10) dst_sel:DWORD dst_unused:UNUSED_PAD src0_sel:WORD_0
	v_ashrrev_i16_e32 v26, 8, v26
	v_cvt_f32_i32_sdwa v25, sext(v25) dst_sel:DWORD dst_unused:UNUSED_PAD src0_sel:WORD_0
	v_cvt_f32_i32_sdwa v24, sext(v24) dst_sel:DWORD dst_unused:UNUSED_PAD src0_sel:WORD_0
	;; [unrolled: 1-line block ×3, first 2 shown]
	s_waitcnt vmcnt(0)
	v_bfe_i32 v28, v9, 0, 8
	s_waitcnt lgkmcnt(1)
	v_cvt_f32_i32_e32 v27, v40
	v_ashrrev_i16_e32 v9, 8, v9
	v_cvt_f32_i32_sdwa v28, sext(v28) dst_sel:DWORD dst_unused:UNUSED_PAD src0_sel:WORD_0
	s_waitcnt lgkmcnt(0)
	v_cvt_f32_i32_e32 v29, v41
	v_cvt_f32_i32_sdwa v9, sext(v9) dst_sel:DWORD dst_unused:UNUSED_PAD src0_sel:WORD_0
	v_fmac_f32_e32 v19, v10, v25
	v_fmac_f32_e32 v19, v24, v26
	;; [unrolled: 1-line block ×4, first 2 shown]
	s_branch .LBB18_10
.LBB18_15:                              ;   in Loop: Header=BB18_8 Depth=1
	s_or_b64 exec, exec, s[18:19]
.LBB18_16:                              ;   in Loop: Header=BB18_8 Depth=1
	s_or_b64 exec, exec, s[14:15]
	s_and_saveexec_b64 s[14:15], s[0:1]
	s_cbranch_execz .LBB18_7
; %bb.17:                               ;   in Loop: Header=BB18_8 Depth=1
	v_mul_f32_e32 v9, s28, v19
	s_mov_b64 s[18:19], -1
	s_and_b64 vcc, exec, s[4:5]
	s_cbranch_vccz .LBB18_23
; %bb.18:                               ;   in Loop: Header=BB18_8 Depth=1
	s_and_b64 vcc, exec, s[6:7]
	s_cbranch_vccz .LBB18_20
; %bb.19:                               ;   in Loop: Header=BB18_8 Depth=1
	global_load_dword v10, v[5:6], off
	s_mov_b64 s[18:19], 0
	s_waitcnt vmcnt(0)
	v_fma_f32 v10, s30, v10, v9
	global_store_dword v[5:6], v10, off
.LBB18_20:                              ;   in Loop: Header=BB18_8 Depth=1
	s_andn2_b64 vcc, exec, s[18:19]
	s_cbranch_vccnz .LBB18_22
; %bb.21:                               ;   in Loop: Header=BB18_8 Depth=1
	global_load_dword v10, v[7:8], off
	s_waitcnt vmcnt(0)
	v_fma_f32 v10, s30, v10, v9
	global_store_dword v[7:8], v10, off
.LBB18_22:                              ;   in Loop: Header=BB18_8 Depth=1
	s_mov_b64 s[18:19], 0
.LBB18_23:                              ;   in Loop: Header=BB18_8 Depth=1
	s_andn2_b64 vcc, exec, s[18:19]
	s_cbranch_vccnz .LBB18_7
; %bb.24:                               ;   in Loop: Header=BB18_8 Depth=1
	s_mov_b64 s[18:19], -1
	s_and_b64 vcc, exec, s[6:7]
	s_cbranch_vccz .LBB18_26
; %bb.25:                               ;   in Loop: Header=BB18_8 Depth=1
	global_store_dword v[5:6], v9, off
	s_mov_b64 s[18:19], 0
.LBB18_26:                              ;   in Loop: Header=BB18_8 Depth=1
	s_andn2_b64 vcc, exec, s[18:19]
	s_cbranch_vccnz .LBB18_7
; %bb.27:                               ;   in Loop: Header=BB18_8 Depth=1
	global_store_dword v[7:8], v9, off
	s_branch .LBB18_7
.LBB18_28:
	s_endpgm
	.section	.rodata,"a",@progbits
	.p2align	6, 0x0
	.amdhsa_kernel _ZN9rocsparseL29bsrmmnn_small_blockdim_kernelILj64ELj8ELj2EiiaaffEEv20rocsparse_direction_T3_S2_llNS_24const_host_device_scalarIT7_EEPKT2_PKS2_PKT4_PKT5_llS5_PT6_ll16rocsparse_order_21rocsparse_index_base_b
		.amdhsa_group_segment_fixed_size 448
		.amdhsa_private_segment_fixed_size 0
		.amdhsa_kernarg_size 392
		.amdhsa_user_sgpr_count 6
		.amdhsa_user_sgpr_private_segment_buffer 1
		.amdhsa_user_sgpr_dispatch_ptr 0
		.amdhsa_user_sgpr_queue_ptr 0
		.amdhsa_user_sgpr_kernarg_segment_ptr 1
		.amdhsa_user_sgpr_dispatch_id 0
		.amdhsa_user_sgpr_flat_scratch_init 0
		.amdhsa_user_sgpr_private_segment_size 0
		.amdhsa_uses_dynamic_stack 0
		.amdhsa_system_sgpr_private_segment_wavefront_offset 0
		.amdhsa_system_sgpr_workgroup_id_x 1
		.amdhsa_system_sgpr_workgroup_id_y 1
		.amdhsa_system_sgpr_workgroup_id_z 0
		.amdhsa_system_sgpr_workgroup_info 0
		.amdhsa_system_vgpr_workitem_id 0
		.amdhsa_next_free_vgpr 46
		.amdhsa_next_free_sgpr 32
		.amdhsa_reserve_vcc 1
		.amdhsa_reserve_flat_scratch 0
		.amdhsa_float_round_mode_32 0
		.amdhsa_float_round_mode_16_64 0
		.amdhsa_float_denorm_mode_32 3
		.amdhsa_float_denorm_mode_16_64 3
		.amdhsa_dx10_clamp 1
		.amdhsa_ieee_mode 1
		.amdhsa_fp16_overflow 0
		.amdhsa_exception_fp_ieee_invalid_op 0
		.amdhsa_exception_fp_denorm_src 0
		.amdhsa_exception_fp_ieee_div_zero 0
		.amdhsa_exception_fp_ieee_overflow 0
		.amdhsa_exception_fp_ieee_underflow 0
		.amdhsa_exception_fp_ieee_inexact 0
		.amdhsa_exception_int_div_zero 0
	.end_amdhsa_kernel
	.section	.text._ZN9rocsparseL29bsrmmnn_small_blockdim_kernelILj64ELj8ELj2EiiaaffEEv20rocsparse_direction_T3_S2_llNS_24const_host_device_scalarIT7_EEPKT2_PKS2_PKT4_PKT5_llS5_PT6_ll16rocsparse_order_21rocsparse_index_base_b,"axG",@progbits,_ZN9rocsparseL29bsrmmnn_small_blockdim_kernelILj64ELj8ELj2EiiaaffEEv20rocsparse_direction_T3_S2_llNS_24const_host_device_scalarIT7_EEPKT2_PKS2_PKT4_PKT5_llS5_PT6_ll16rocsparse_order_21rocsparse_index_base_b,comdat
.Lfunc_end18:
	.size	_ZN9rocsparseL29bsrmmnn_small_blockdim_kernelILj64ELj8ELj2EiiaaffEEv20rocsparse_direction_T3_S2_llNS_24const_host_device_scalarIT7_EEPKT2_PKS2_PKT4_PKT5_llS5_PT6_ll16rocsparse_order_21rocsparse_index_base_b, .Lfunc_end18-_ZN9rocsparseL29bsrmmnn_small_blockdim_kernelILj64ELj8ELj2EiiaaffEEv20rocsparse_direction_T3_S2_llNS_24const_host_device_scalarIT7_EEPKT2_PKS2_PKT4_PKT5_llS5_PT6_ll16rocsparse_order_21rocsparse_index_base_b
                                        ; -- End function
	.set _ZN9rocsparseL29bsrmmnn_small_blockdim_kernelILj64ELj8ELj2EiiaaffEEv20rocsparse_direction_T3_S2_llNS_24const_host_device_scalarIT7_EEPKT2_PKS2_PKT4_PKT5_llS5_PT6_ll16rocsparse_order_21rocsparse_index_base_b.num_vgpr, 46
	.set _ZN9rocsparseL29bsrmmnn_small_blockdim_kernelILj64ELj8ELj2EiiaaffEEv20rocsparse_direction_T3_S2_llNS_24const_host_device_scalarIT7_EEPKT2_PKS2_PKT4_PKT5_llS5_PT6_ll16rocsparse_order_21rocsparse_index_base_b.num_agpr, 0
	.set _ZN9rocsparseL29bsrmmnn_small_blockdim_kernelILj64ELj8ELj2EiiaaffEEv20rocsparse_direction_T3_S2_llNS_24const_host_device_scalarIT7_EEPKT2_PKS2_PKT4_PKT5_llS5_PT6_ll16rocsparse_order_21rocsparse_index_base_b.numbered_sgpr, 32
	.set _ZN9rocsparseL29bsrmmnn_small_blockdim_kernelILj64ELj8ELj2EiiaaffEEv20rocsparse_direction_T3_S2_llNS_24const_host_device_scalarIT7_EEPKT2_PKS2_PKT4_PKT5_llS5_PT6_ll16rocsparse_order_21rocsparse_index_base_b.num_named_barrier, 0
	.set _ZN9rocsparseL29bsrmmnn_small_blockdim_kernelILj64ELj8ELj2EiiaaffEEv20rocsparse_direction_T3_S2_llNS_24const_host_device_scalarIT7_EEPKT2_PKS2_PKT4_PKT5_llS5_PT6_ll16rocsparse_order_21rocsparse_index_base_b.private_seg_size, 0
	.set _ZN9rocsparseL29bsrmmnn_small_blockdim_kernelILj64ELj8ELj2EiiaaffEEv20rocsparse_direction_T3_S2_llNS_24const_host_device_scalarIT7_EEPKT2_PKS2_PKT4_PKT5_llS5_PT6_ll16rocsparse_order_21rocsparse_index_base_b.uses_vcc, 1
	.set _ZN9rocsparseL29bsrmmnn_small_blockdim_kernelILj64ELj8ELj2EiiaaffEEv20rocsparse_direction_T3_S2_llNS_24const_host_device_scalarIT7_EEPKT2_PKS2_PKT4_PKT5_llS5_PT6_ll16rocsparse_order_21rocsparse_index_base_b.uses_flat_scratch, 0
	.set _ZN9rocsparseL29bsrmmnn_small_blockdim_kernelILj64ELj8ELj2EiiaaffEEv20rocsparse_direction_T3_S2_llNS_24const_host_device_scalarIT7_EEPKT2_PKS2_PKT4_PKT5_llS5_PT6_ll16rocsparse_order_21rocsparse_index_base_b.has_dyn_sized_stack, 0
	.set _ZN9rocsparseL29bsrmmnn_small_blockdim_kernelILj64ELj8ELj2EiiaaffEEv20rocsparse_direction_T3_S2_llNS_24const_host_device_scalarIT7_EEPKT2_PKS2_PKT4_PKT5_llS5_PT6_ll16rocsparse_order_21rocsparse_index_base_b.has_recursion, 0
	.set _ZN9rocsparseL29bsrmmnn_small_blockdim_kernelILj64ELj8ELj2EiiaaffEEv20rocsparse_direction_T3_S2_llNS_24const_host_device_scalarIT7_EEPKT2_PKS2_PKT4_PKT5_llS5_PT6_ll16rocsparse_order_21rocsparse_index_base_b.has_indirect_call, 0
	.section	.AMDGPU.csdata,"",@progbits
; Kernel info:
; codeLenInByte = 1788
; TotalNumSgprs: 36
; NumVgprs: 46
; ScratchSize: 0
; MemoryBound: 0
; FloatMode: 240
; IeeeMode: 1
; LDSByteSize: 448 bytes/workgroup (compile time only)
; SGPRBlocks: 4
; VGPRBlocks: 11
; NumSGPRsForWavesPerEU: 36
; NumVGPRsForWavesPerEU: 46
; Occupancy: 5
; WaveLimiterHint : 0
; COMPUTE_PGM_RSRC2:SCRATCH_EN: 0
; COMPUTE_PGM_RSRC2:USER_SGPR: 6
; COMPUTE_PGM_RSRC2:TRAP_HANDLER: 0
; COMPUTE_PGM_RSRC2:TGID_X_EN: 1
; COMPUTE_PGM_RSRC2:TGID_Y_EN: 1
; COMPUTE_PGM_RSRC2:TGID_Z_EN: 0
; COMPUTE_PGM_RSRC2:TIDIG_COMP_CNT: 0
	.section	.text._ZN9rocsparseL29bsrmmnn_small_blockdim_kernelILj64ELj8ELj2EliaaffEEv20rocsparse_direction_T3_S2_llNS_24const_host_device_scalarIT7_EEPKT2_PKS2_PKT4_PKT5_llS5_PT6_ll16rocsparse_order_21rocsparse_index_base_b,"axG",@progbits,_ZN9rocsparseL29bsrmmnn_small_blockdim_kernelILj64ELj8ELj2EliaaffEEv20rocsparse_direction_T3_S2_llNS_24const_host_device_scalarIT7_EEPKT2_PKS2_PKT4_PKT5_llS5_PT6_ll16rocsparse_order_21rocsparse_index_base_b,comdat
	.globl	_ZN9rocsparseL29bsrmmnn_small_blockdim_kernelILj64ELj8ELj2EliaaffEEv20rocsparse_direction_T3_S2_llNS_24const_host_device_scalarIT7_EEPKT2_PKS2_PKT4_PKT5_llS5_PT6_ll16rocsparse_order_21rocsparse_index_base_b ; -- Begin function _ZN9rocsparseL29bsrmmnn_small_blockdim_kernelILj64ELj8ELj2EliaaffEEv20rocsparse_direction_T3_S2_llNS_24const_host_device_scalarIT7_EEPKT2_PKS2_PKT4_PKT5_llS5_PT6_ll16rocsparse_order_21rocsparse_index_base_b
	.p2align	8
	.type	_ZN9rocsparseL29bsrmmnn_small_blockdim_kernelILj64ELj8ELj2EliaaffEEv20rocsparse_direction_T3_S2_llNS_24const_host_device_scalarIT7_EEPKT2_PKS2_PKT4_PKT5_llS5_PT6_ll16rocsparse_order_21rocsparse_index_base_b,@function
_ZN9rocsparseL29bsrmmnn_small_blockdim_kernelILj64ELj8ELj2EliaaffEEv20rocsparse_direction_T3_S2_llNS_24const_host_device_scalarIT7_EEPKT2_PKS2_PKT4_PKT5_llS5_PT6_ll16rocsparse_order_21rocsparse_index_base_b: ; @_ZN9rocsparseL29bsrmmnn_small_blockdim_kernelILj64ELj8ELj2EliaaffEEv20rocsparse_direction_T3_S2_llNS_24const_host_device_scalarIT7_EEPKT2_PKS2_PKT4_PKT5_llS5_PT6_ll16rocsparse_order_21rocsparse_index_base_b
; %bb.0:
	s_load_dwordx4 s[16:19], s[4:5], 0x78
	s_load_dwordx2 s[28:29], s[4:5], 0x20
	s_load_dwordx2 s[30:31], s[4:5], 0x58
	s_waitcnt lgkmcnt(0)
	s_bitcmp1_b32 s18, 0
	s_cselect_b64 s[2:3], -1, 0
	s_xor_b64 s[0:1], s[2:3], -1
	s_and_b64 vcc, exec, s[2:3]
	s_cbranch_vccnz .LBB19_2
; %bb.1:
	s_load_dword s28, s[28:29], 0x0
.LBB19_2:
	s_andn2_b64 vcc, exec, s[0:1]
	s_cbranch_vccnz .LBB19_4
; %bb.3:
	s_load_dword s30, s[30:31], 0x0
.LBB19_4:
	s_waitcnt lgkmcnt(0)
	v_cmp_eq_f32_e64 s[0:1], s28, 0
	v_cmp_eq_f32_e64 s[2:3], s30, 1.0
	s_and_b64 s[0:1], s[0:1], s[2:3]
	s_and_b64 vcc, exec, s[0:1]
	s_cbranch_vccnz .LBB19_28
; %bb.5:
	s_load_dword s0, s[4:5], 0x88
	s_load_dwordx4 s[20:23], s[4:5], 0x0
	s_add_u32 s1, s4, 0x88
	s_addc_u32 s3, s5, 0
	v_mov_b32_e32 v5, 0
	s_waitcnt lgkmcnt(0)
	s_cmp_lt_u32 s6, s0
	s_cselect_b32 s2, 12, 18
	s_add_u32 s2, s1, s2
	s_addc_u32 s3, s3, 0
	global_load_ushort v2, v5, s[2:3]
	s_waitcnt vmcnt(0)
	v_mul_lo_u32 v1, s6, v2
	v_add_u32_e32 v1, v1, v0
	v_lshrrev_b32_e32 v4, 4, v1
	v_cmp_gt_i32_e32 vcc, s21, v4
	s_and_saveexec_b64 s[2:3], vcc
	s_cbranch_execz .LBB19_28
; %bb.6:
	v_mul_lo_u32 v2, s0, v2
	v_and_b32_e32 v17, 7, v1
	s_load_dwordx8 s[8:15], s[4:5], 0x28
	s_load_dwordx4 s[24:27], s[4:5], 0x60
	s_load_dwordx2 s[0:1], s[4:5], 0x48
	v_lshrrev_b32_e32 v0, 3, v0
	v_lshrrev_b32_e32 v16, 4, v2
	v_lshl_or_b32 v2, s7, 3, v17
	v_ashrrev_i32_e32 v3, 31, v2
	v_lshlrev_b64 v[6:7], 2, v[2:3]
	v_lshrrev_b32_e32 v12, 3, v1
	v_lshlrev_b32_e32 v18, 5, v0
	v_mul_u32_u24_e32 v0, 24, v0
	s_waitcnt lgkmcnt(0)
	v_mov_b32_e32 v8, s25
	v_add_co_u32_e32 v10, vcc, s24, v6
	v_bfe_u32 v13, v1, 3, 1
	v_or_b32_e32 v20, 0x100, v0
	v_mad_u64_u32 v[0:1], s[2:3], s26, v12, 0
	v_addc_co_u32_e32 v11, vcc, v8, v7, vcc
	v_mov_b32_e32 v6, s14
	v_mov_b32_e32 v7, s15
	v_mul_lo_u32 v15, s0, v3
	v_mul_lo_u32 v21, s1, v2
	v_mad_u64_u32 v[6:7], s[0:1], s0, v2, v[6:7]
	v_mad_u64_u32 v[8:9], s[0:1], s27, v12, v[1:2]
	v_cmp_gt_i32_e64 s[0:1], s22, v2
	v_add3_u32 v7, v21, v7, v15
	v_mul_lo_u32 v15, s26, v3
	v_mul_lo_u32 v21, s27, v2
	v_mad_u64_u32 v[2:3], s[2:3], s26, v2, 0
	v_mov_b32_e32 v1, v8
	v_lshlrev_b64 v[0:1], 2, v[0:1]
	v_add3_u32 v3, v3, v15, v21
	v_add_co_u32_e32 v8, vcc, v10, v0
	v_addc_co_u32_e32 v9, vcc, v11, v1, vcc
	v_lshlrev_b64 v[0:1], 2, v[2:3]
	s_cmp_lg_u32 s16, 1
	v_mov_b32_e32 v2, s25
	v_add_co_u32_e32 v0, vcc, s24, v0
	s_cselect_b64 s[4:5], -1, 0
	s_cmp_eq_u32 s20, 0
	v_addc_co_u32_e32 v1, vcc, v2, v1, vcc
	v_lshlrev_b32_e32 v2, 2, v12
	v_add_co_u32_e32 v10, vcc, v0, v2
	s_cselect_b64 s[2:3], -1, 0
	v_addc_co_u32_e32 v11, vcc, 0, v1, vcc
	v_cndmask_b32_e64 v0, 0, 1, s[2:3]
	v_lshlrev_b32_e32 v0, v0, v13
	v_subrev_co_u32_e32 v21, vcc, s17, v17
	v_mul_u32_u24_e32 v14, 3, v17
	s_and_b64 s[2:3], s[2:3], exec
	v_subb_co_u32_e64 v22, s[2:3], 0, 0, vcc
	v_mov_b32_e32 v1, s13
	v_add_co_u32_e32 v23, vcc, s12, v0
	s_mov_b32 s23, s17
	v_lshl_or_b32 v19, v17, 2, v18
	v_cmp_neq_f32_e64 s[6:7], s30, 0
	s_cselect_b32 s16, 1, 2
	v_addc_co_u32_e32 v24, vcc, 0, v1, vcc
	s_mov_b64 s[12:13], 0
	v_add_u32_e32 v25, v20, v14
	s_branch .LBB19_8
.LBB19_7:                               ;   in Loop: Header=BB19_8 Depth=1
	s_or_b64 exec, exec, s[2:3]
	v_add_u32_e32 v4, v4, v16
	v_cmp_le_i32_e32 vcc, s21, v4
	s_or_b64 s[12:13], vcc, s[12:13]
	s_andn2_b64 exec, exec, s[12:13]
	s_cbranch_execz .LBB19_28
.LBB19_8:                               ; =>This Loop Header: Depth=1
                                        ;     Child Loop BB19_11 Depth 2
	v_lshlrev_b64 v[0:1], 3, v[4:5]
	v_mov_b32_e32 v2, s9
	v_add_co_u32_e32 v0, vcc, s8, v0
	v_addc_co_u32_e32 v1, vcc, v2, v1, vcc
	global_load_dwordx4 v[0:3], v[0:1], off
	v_mov_b32_e32 v26, 0
	s_waitcnt vmcnt(0)
	v_cmp_lt_i64_e32 vcc, v[0:1], v[2:3]
	s_and_saveexec_b64 s[14:15], vcc
	s_cbranch_execz .LBB19_16
; %bb.9:                                ;   in Loop: Header=BB19_8 Depth=1
	v_subrev_co_u32_e32 v2, vcc, s23, v2
	v_subbrev_co_u32_e32 v3, vcc, 0, v3, vcc
	v_subrev_co_u32_e32 v12, vcc, s23, v0
	v_subbrev_co_u32_e32 v13, vcc, 0, v1, vcc
	v_add_co_u32_e32 v0, vcc, v21, v0
	v_addc_co_u32_e32 v1, vcc, v22, v1, vcc
	v_lshlrev_b64 v[14:15], 2, v[0:1]
	v_mov_b32_e32 v1, s11
	v_add_co_u32_e32 v0, vcc, s10, v14
	v_addc_co_u32_e32 v1, vcc, v1, v15, vcc
	v_add_co_u32_e32 v14, vcc, v23, v14
	v_addc_co_u32_e32 v15, vcc, v24, v15, vcc
	v_mov_b32_e32 v26, 0
	s_mov_b64 s[18:19], 0
	s_branch .LBB19_11
.LBB19_10:                              ;   in Loop: Header=BB19_11 Depth=2
	s_or_b64 exec, exec, s[2:3]
	v_add_co_u32_e32 v12, vcc, 8, v12
	v_addc_co_u32_e32 v13, vcc, 0, v13, vcc
	v_cmp_ge_i64_e32 vcc, v[12:13], v[2:3]
	v_add_co_u32_e64 v0, s[2:3], 32, v0
	s_or_b64 s[18:19], vcc, s[18:19]
	v_add_co_u32_e32 v14, vcc, 32, v14
	v_addc_co_u32_e64 v1, s[2:3], 0, v1, s[2:3]
	v_addc_co_u32_e32 v15, vcc, 0, v15, vcc
	s_andn2_b64 exec, exec, s[18:19]
	s_cbranch_execz .LBB19_15
.LBB19_11:                              ;   Parent Loop BB19_8 Depth=1
                                        ; =>  This Inner Loop Header: Depth=2
	v_add_co_u32_e32 v27, vcc, v17, v12
	v_addc_co_u32_e32 v28, vcc, 0, v13, vcc
	v_cmp_lt_i64_e32 vcc, v[27:28], v[2:3]
	v_mov_b32_e32 v29, 0
	v_mov_b32_e32 v27, 0
	;; [unrolled: 1-line block ×3, first 2 shown]
	s_and_saveexec_b64 s[2:3], vcc
	s_cbranch_execz .LBB19_13
; %bb.12:                               ;   in Loop: Header=BB19_11 Depth=2
	global_load_dword v31, v[0:1], off
	v_add_co_u32_e32 v29, vcc, s16, v14
	v_addc_co_u32_e32 v30, vcc, 0, v15, vcc
	global_load_ubyte v27, v[14:15], off
	global_load_ubyte v28, v[29:30], off
	s_waitcnt vmcnt(2)
	v_subrev_u32_e32 v29, s17, v31
	v_lshlrev_b32_e32 v29, 1, v29
.LBB19_13:                              ;   in Loop: Header=BB19_11 Depth=2
	s_or_b64 exec, exec, s[2:3]
	ds_write_b32 v19, v29
	s_waitcnt vmcnt(1)
	ds_write_b8 v25, v27
	s_waitcnt vmcnt(0)
	ds_write_b8 v25, v28 offset:1
	s_waitcnt lgkmcnt(0)
	; wave barrier
	s_and_saveexec_b64 s[2:3], s[0:1]
	s_cbranch_execz .LBB19_10
; %bb.14:                               ;   in Loop: Header=BB19_11 Depth=2
	ds_read_b128 v[27:30], v18
	ds_read_b128 v[31:34], v18 offset:16
	s_waitcnt lgkmcnt(1)
	v_ashrrev_i32_e32 v36, 31, v27
	v_add_co_u32_e32 v35, vcc, v6, v27
	v_addc_co_u32_e32 v36, vcc, v7, v36, vcc
	v_ashrrev_i32_e32 v37, 31, v28
	v_add_co_u32_e32 v27, vcc, v6, v28
	v_addc_co_u32_e32 v28, vcc, v7, v37, vcc
	;; [unrolled: 3-line block ×3, first 2 shown]
	global_load_ushort v29, v[35:36], off
	global_load_ushort v40, v[27:28], off
	;; [unrolled: 1-line block ×3, first 2 shown]
	v_ashrrev_i32_e32 v39, 31, v30
	v_add_co_u32_e32 v27, vcc, v6, v30
	v_addc_co_u32_e32 v28, vcc, v7, v39, vcc
	global_load_ushort v30, v[27:28], off
	s_waitcnt lgkmcnt(0)
	v_ashrrev_i32_e32 v28, 31, v31
	v_add_co_u32_e32 v27, vcc, v6, v31
	v_addc_co_u32_e32 v28, vcc, v7, v28, vcc
	global_load_ushort v31, v[27:28], off
	v_ashrrev_i32_e32 v28, 31, v32
	v_add_co_u32_e32 v27, vcc, v6, v32
	v_addc_co_u32_e32 v28, vcc, v7, v28, vcc
	global_load_ushort v32, v[27:28], off
	;; [unrolled: 4-line block ×4, first 2 shown]
	ds_read_u16 v28, v20
	ds_read_i8 v34, v20 offset:3
	ds_read_i8 v35, v20 offset:4
	ds_read_u16 v36, v20 offset:6
	ds_read_i8 v37, v20 offset:9
	ds_read_i8 v38, v20 offset:10
	ds_read_u16 v39, v20 offset:12
	;; [unrolled: 3-line block ×3, first 2 shown]
	ds_read_i8 v45, v20 offset:21
	ds_read_i8 v46, v20 offset:22
	s_waitcnt lgkmcnt(11)
	v_bfe_i32 v47, v28, 0, 8
	v_ashrrev_i16_e32 v28, 8, v28
	v_cvt_f32_i32_sdwa v47, sext(v47) dst_sel:DWORD dst_unused:UNUSED_PAD src0_sel:WORD_0
	v_cvt_f32_i32_sdwa v28, sext(v28) dst_sel:DWORD dst_unused:UNUSED_PAD src0_sel:WORD_0
	s_waitcnt lgkmcnt(10)
	v_cvt_f32_i32_e32 v34, v34
	s_waitcnt lgkmcnt(9)
	v_cvt_f32_i32_e32 v35, v35
	s_waitcnt lgkmcnt(8)
	v_bfe_i32 v48, v36, 0, 8
	v_ashrrev_i16_e32 v36, 8, v36
	v_cvt_f32_i32_sdwa v48, sext(v48) dst_sel:DWORD dst_unused:UNUSED_PAD src0_sel:WORD_0
	v_cvt_f32_i32_sdwa v36, sext(v36) dst_sel:DWORD dst_unused:UNUSED_PAD src0_sel:WORD_0
	s_waitcnt lgkmcnt(7)
	v_cvt_f32_i32_e32 v37, v37
	s_waitcnt lgkmcnt(6)
	v_cvt_f32_i32_e32 v38, v38
	s_waitcnt lgkmcnt(5)
	v_bfe_i32 v49, v39, 0, 8
	v_ashrrev_i16_e32 v39, 8, v39
	s_waitcnt vmcnt(7)
	v_bfe_i32 v50, v29, 0, 8
	v_ashrrev_i16_e32 v29, 8, v29
	v_cvt_f32_i32_sdwa v50, sext(v50) dst_sel:DWORD dst_unused:UNUSED_PAD src0_sel:WORD_0
	s_waitcnt vmcnt(6)
	v_bfe_i32 v51, v40, 0, 8
	v_cvt_f32_i32_sdwa v29, sext(v29) dst_sel:DWORD dst_unused:UNUSED_PAD src0_sel:WORD_0
	v_ashrrev_i16_e32 v40, 8, v40
	v_cvt_f32_i32_sdwa v51, sext(v51) dst_sel:DWORD dst_unused:UNUSED_PAD src0_sel:WORD_0
	s_waitcnt vmcnt(5)
	v_bfe_i32 v52, v41, 0, 8
	v_cvt_f32_i32_sdwa v40, sext(v40) dst_sel:DWORD dst_unused:UNUSED_PAD src0_sel:WORD_0
	v_ashrrev_i16_e32 v41, 8, v41
	v_cvt_f32_i32_sdwa v52, sext(v52) dst_sel:DWORD dst_unused:UNUSED_PAD src0_sel:WORD_0
	v_fmac_f32_e32 v26, v47, v50
	s_waitcnt vmcnt(4)
	v_bfe_i32 v53, v30, 0, 8
	v_cvt_f32_i32_sdwa v41, sext(v41) dst_sel:DWORD dst_unused:UNUSED_PAD src0_sel:WORD_0
	v_fmac_f32_e32 v26, v28, v29
	v_ashrrev_i16_e32 v30, 8, v30
	v_cvt_f32_i32_sdwa v53, sext(v53) dst_sel:DWORD dst_unused:UNUSED_PAD src0_sel:WORD_0
	v_fmac_f32_e32 v26, v34, v51
	v_cvt_f32_i32_sdwa v30, sext(v30) dst_sel:DWORD dst_unused:UNUSED_PAD src0_sel:WORD_0
	v_fmac_f32_e32 v26, v35, v40
	v_fmac_f32_e32 v26, v48, v52
	;; [unrolled: 1-line block ×4, first 2 shown]
	s_waitcnt vmcnt(3)
	v_bfe_i32 v29, v31, 0, 8
	v_fmac_f32_e32 v26, v38, v30
	v_cvt_f32_i32_sdwa v28, sext(v49) dst_sel:DWORD dst_unused:UNUSED_PAD src0_sel:WORD_0
	v_ashrrev_i16_e32 v30, 8, v31
	v_cvt_f32_i32_sdwa v29, sext(v29) dst_sel:DWORD dst_unused:UNUSED_PAD src0_sel:WORD_0
	v_cvt_f32_i32_sdwa v31, sext(v39) dst_sel:DWORD dst_unused:UNUSED_PAD src0_sel:WORD_0
	;; [unrolled: 1-line block ×3, first 2 shown]
	s_waitcnt vmcnt(2)
	v_bfe_i32 v35, v32, 0, 8
	s_waitcnt lgkmcnt(4)
	v_cvt_f32_i32_e32 v34, v42
	v_ashrrev_i16_e32 v32, 8, v32
	v_cvt_f32_i32_sdwa v35, sext(v35) dst_sel:DWORD dst_unused:UNUSED_PAD src0_sel:WORD_0
	s_waitcnt lgkmcnt(3)
	v_cvt_f32_i32_e32 v36, v43
	v_cvt_f32_i32_sdwa v32, sext(v32) dst_sel:DWORD dst_unused:UNUSED_PAD src0_sel:WORD_0
	v_fmac_f32_e32 v26, v28, v29
	v_fmac_f32_e32 v26, v31, v30
	s_waitcnt lgkmcnt(2)
	v_bfe_i32 v28, v44, 0, 8
	s_waitcnt vmcnt(1)
	v_bfe_i32 v30, v33, 0, 8
	v_ashrrev_i16_e32 v29, 8, v44
	v_cvt_f32_i32_sdwa v28, sext(v28) dst_sel:DWORD dst_unused:UNUSED_PAD src0_sel:WORD_0
	v_ashrrev_i16_e32 v31, 8, v33
	v_cvt_f32_i32_sdwa v30, sext(v30) dst_sel:DWORD dst_unused:UNUSED_PAD src0_sel:WORD_0
	v_fmac_f32_e32 v26, v34, v35
	v_cvt_f32_i32_sdwa v29, sext(v29) dst_sel:DWORD dst_unused:UNUSED_PAD src0_sel:WORD_0
	v_cvt_f32_i32_sdwa v31, sext(v31) dst_sel:DWORD dst_unused:UNUSED_PAD src0_sel:WORD_0
	s_waitcnt vmcnt(0)
	v_bfe_i32 v33, v27, 0, 8
	v_fmac_f32_e32 v26, v36, v32
	s_waitcnt lgkmcnt(1)
	v_cvt_f32_i32_e32 v32, v45
	v_ashrrev_i16_e32 v27, 8, v27
	v_cvt_f32_i32_sdwa v33, sext(v33) dst_sel:DWORD dst_unused:UNUSED_PAD src0_sel:WORD_0
	s_waitcnt lgkmcnt(0)
	v_cvt_f32_i32_e32 v34, v46
	v_cvt_f32_i32_sdwa v27, sext(v27) dst_sel:DWORD dst_unused:UNUSED_PAD src0_sel:WORD_0
	v_fmac_f32_e32 v26, v28, v30
	v_fmac_f32_e32 v26, v29, v31
	;; [unrolled: 1-line block ×4, first 2 shown]
	s_branch .LBB19_10
.LBB19_15:                              ;   in Loop: Header=BB19_8 Depth=1
	s_or_b64 exec, exec, s[18:19]
.LBB19_16:                              ;   in Loop: Header=BB19_8 Depth=1
	s_or_b64 exec, exec, s[14:15]
	s_and_saveexec_b64 s[2:3], s[0:1]
	s_cbranch_execz .LBB19_7
; %bb.17:                               ;   in Loop: Header=BB19_8 Depth=1
	v_mul_f32_e32 v0, s28, v26
	s_mov_b64 s[14:15], -1
	s_and_b64 vcc, exec, s[6:7]
	s_cbranch_vccz .LBB19_23
; %bb.18:                               ;   in Loop: Header=BB19_8 Depth=1
	s_and_b64 vcc, exec, s[4:5]
	s_cbranch_vccz .LBB19_20
; %bb.19:                               ;   in Loop: Header=BB19_8 Depth=1
	global_load_dword v1, v[8:9], off
	s_mov_b64 s[14:15], 0
	s_waitcnt vmcnt(0)
	v_fma_f32 v1, s30, v1, v0
	global_store_dword v[8:9], v1, off
.LBB19_20:                              ;   in Loop: Header=BB19_8 Depth=1
	s_andn2_b64 vcc, exec, s[14:15]
	s_cbranch_vccnz .LBB19_22
; %bb.21:                               ;   in Loop: Header=BB19_8 Depth=1
	global_load_dword v1, v[10:11], off
	s_waitcnt vmcnt(0)
	v_fma_f32 v1, s30, v1, v0
	global_store_dword v[10:11], v1, off
.LBB19_22:                              ;   in Loop: Header=BB19_8 Depth=1
	s_mov_b64 s[14:15], 0
.LBB19_23:                              ;   in Loop: Header=BB19_8 Depth=1
	s_andn2_b64 vcc, exec, s[14:15]
	s_cbranch_vccnz .LBB19_7
; %bb.24:                               ;   in Loop: Header=BB19_8 Depth=1
	s_mov_b64 s[14:15], -1
	s_and_b64 vcc, exec, s[4:5]
	s_cbranch_vccz .LBB19_26
; %bb.25:                               ;   in Loop: Header=BB19_8 Depth=1
	global_store_dword v[8:9], v0, off
	s_mov_b64 s[14:15], 0
.LBB19_26:                              ;   in Loop: Header=BB19_8 Depth=1
	s_andn2_b64 vcc, exec, s[14:15]
	s_cbranch_vccnz .LBB19_7
; %bb.27:                               ;   in Loop: Header=BB19_8 Depth=1
	global_store_dword v[10:11], v0, off
	s_branch .LBB19_7
.LBB19_28:
	s_endpgm
	.section	.rodata,"a",@progbits
	.p2align	6, 0x0
	.amdhsa_kernel _ZN9rocsparseL29bsrmmnn_small_blockdim_kernelILj64ELj8ELj2EliaaffEEv20rocsparse_direction_T3_S2_llNS_24const_host_device_scalarIT7_EEPKT2_PKS2_PKT4_PKT5_llS5_PT6_ll16rocsparse_order_21rocsparse_index_base_b
		.amdhsa_group_segment_fixed_size 448
		.amdhsa_private_segment_fixed_size 0
		.amdhsa_kernarg_size 392
		.amdhsa_user_sgpr_count 6
		.amdhsa_user_sgpr_private_segment_buffer 1
		.amdhsa_user_sgpr_dispatch_ptr 0
		.amdhsa_user_sgpr_queue_ptr 0
		.amdhsa_user_sgpr_kernarg_segment_ptr 1
		.amdhsa_user_sgpr_dispatch_id 0
		.amdhsa_user_sgpr_flat_scratch_init 0
		.amdhsa_user_sgpr_private_segment_size 0
		.amdhsa_uses_dynamic_stack 0
		.amdhsa_system_sgpr_private_segment_wavefront_offset 0
		.amdhsa_system_sgpr_workgroup_id_x 1
		.amdhsa_system_sgpr_workgroup_id_y 1
		.amdhsa_system_sgpr_workgroup_id_z 0
		.amdhsa_system_sgpr_workgroup_info 0
		.amdhsa_system_vgpr_workitem_id 0
		.amdhsa_next_free_vgpr 54
		.amdhsa_next_free_sgpr 32
		.amdhsa_reserve_vcc 1
		.amdhsa_reserve_flat_scratch 0
		.amdhsa_float_round_mode_32 0
		.amdhsa_float_round_mode_16_64 0
		.amdhsa_float_denorm_mode_32 3
		.amdhsa_float_denorm_mode_16_64 3
		.amdhsa_dx10_clamp 1
		.amdhsa_ieee_mode 1
		.amdhsa_fp16_overflow 0
		.amdhsa_exception_fp_ieee_invalid_op 0
		.amdhsa_exception_fp_denorm_src 0
		.amdhsa_exception_fp_ieee_div_zero 0
		.amdhsa_exception_fp_ieee_overflow 0
		.amdhsa_exception_fp_ieee_underflow 0
		.amdhsa_exception_fp_ieee_inexact 0
		.amdhsa_exception_int_div_zero 0
	.end_amdhsa_kernel
	.section	.text._ZN9rocsparseL29bsrmmnn_small_blockdim_kernelILj64ELj8ELj2EliaaffEEv20rocsparse_direction_T3_S2_llNS_24const_host_device_scalarIT7_EEPKT2_PKS2_PKT4_PKT5_llS5_PT6_ll16rocsparse_order_21rocsparse_index_base_b,"axG",@progbits,_ZN9rocsparseL29bsrmmnn_small_blockdim_kernelILj64ELj8ELj2EliaaffEEv20rocsparse_direction_T3_S2_llNS_24const_host_device_scalarIT7_EEPKT2_PKS2_PKT4_PKT5_llS5_PT6_ll16rocsparse_order_21rocsparse_index_base_b,comdat
.Lfunc_end19:
	.size	_ZN9rocsparseL29bsrmmnn_small_blockdim_kernelILj64ELj8ELj2EliaaffEEv20rocsparse_direction_T3_S2_llNS_24const_host_device_scalarIT7_EEPKT2_PKS2_PKT4_PKT5_llS5_PT6_ll16rocsparse_order_21rocsparse_index_base_b, .Lfunc_end19-_ZN9rocsparseL29bsrmmnn_small_blockdim_kernelILj64ELj8ELj2EliaaffEEv20rocsparse_direction_T3_S2_llNS_24const_host_device_scalarIT7_EEPKT2_PKS2_PKT4_PKT5_llS5_PT6_ll16rocsparse_order_21rocsparse_index_base_b
                                        ; -- End function
	.set _ZN9rocsparseL29bsrmmnn_small_blockdim_kernelILj64ELj8ELj2EliaaffEEv20rocsparse_direction_T3_S2_llNS_24const_host_device_scalarIT7_EEPKT2_PKS2_PKT4_PKT5_llS5_PT6_ll16rocsparse_order_21rocsparse_index_base_b.num_vgpr, 54
	.set _ZN9rocsparseL29bsrmmnn_small_blockdim_kernelILj64ELj8ELj2EliaaffEEv20rocsparse_direction_T3_S2_llNS_24const_host_device_scalarIT7_EEPKT2_PKS2_PKT4_PKT5_llS5_PT6_ll16rocsparse_order_21rocsparse_index_base_b.num_agpr, 0
	.set _ZN9rocsparseL29bsrmmnn_small_blockdim_kernelILj64ELj8ELj2EliaaffEEv20rocsparse_direction_T3_S2_llNS_24const_host_device_scalarIT7_EEPKT2_PKS2_PKT4_PKT5_llS5_PT6_ll16rocsparse_order_21rocsparse_index_base_b.numbered_sgpr, 32
	.set _ZN9rocsparseL29bsrmmnn_small_blockdim_kernelILj64ELj8ELj2EliaaffEEv20rocsparse_direction_T3_S2_llNS_24const_host_device_scalarIT7_EEPKT2_PKS2_PKT4_PKT5_llS5_PT6_ll16rocsparse_order_21rocsparse_index_base_b.num_named_barrier, 0
	.set _ZN9rocsparseL29bsrmmnn_small_blockdim_kernelILj64ELj8ELj2EliaaffEEv20rocsparse_direction_T3_S2_llNS_24const_host_device_scalarIT7_EEPKT2_PKS2_PKT4_PKT5_llS5_PT6_ll16rocsparse_order_21rocsparse_index_base_b.private_seg_size, 0
	.set _ZN9rocsparseL29bsrmmnn_small_blockdim_kernelILj64ELj8ELj2EliaaffEEv20rocsparse_direction_T3_S2_llNS_24const_host_device_scalarIT7_EEPKT2_PKS2_PKT4_PKT5_llS5_PT6_ll16rocsparse_order_21rocsparse_index_base_b.uses_vcc, 1
	.set _ZN9rocsparseL29bsrmmnn_small_blockdim_kernelILj64ELj8ELj2EliaaffEEv20rocsparse_direction_T3_S2_llNS_24const_host_device_scalarIT7_EEPKT2_PKS2_PKT4_PKT5_llS5_PT6_ll16rocsparse_order_21rocsparse_index_base_b.uses_flat_scratch, 0
	.set _ZN9rocsparseL29bsrmmnn_small_blockdim_kernelILj64ELj8ELj2EliaaffEEv20rocsparse_direction_T3_S2_llNS_24const_host_device_scalarIT7_EEPKT2_PKS2_PKT4_PKT5_llS5_PT6_ll16rocsparse_order_21rocsparse_index_base_b.has_dyn_sized_stack, 0
	.set _ZN9rocsparseL29bsrmmnn_small_blockdim_kernelILj64ELj8ELj2EliaaffEEv20rocsparse_direction_T3_S2_llNS_24const_host_device_scalarIT7_EEPKT2_PKS2_PKT4_PKT5_llS5_PT6_ll16rocsparse_order_21rocsparse_index_base_b.has_recursion, 0
	.set _ZN9rocsparseL29bsrmmnn_small_blockdim_kernelILj64ELj8ELj2EliaaffEEv20rocsparse_direction_T3_S2_llNS_24const_host_device_scalarIT7_EEPKT2_PKS2_PKT4_PKT5_llS5_PT6_ll16rocsparse_order_21rocsparse_index_base_b.has_indirect_call, 0
	.section	.AMDGPU.csdata,"",@progbits
; Kernel info:
; codeLenInByte = 1824
; TotalNumSgprs: 36
; NumVgprs: 54
; ScratchSize: 0
; MemoryBound: 0
; FloatMode: 240
; IeeeMode: 1
; LDSByteSize: 448 bytes/workgroup (compile time only)
; SGPRBlocks: 4
; VGPRBlocks: 13
; NumSGPRsForWavesPerEU: 36
; NumVGPRsForWavesPerEU: 54
; Occupancy: 4
; WaveLimiterHint : 0
; COMPUTE_PGM_RSRC2:SCRATCH_EN: 0
; COMPUTE_PGM_RSRC2:USER_SGPR: 6
; COMPUTE_PGM_RSRC2:TRAP_HANDLER: 0
; COMPUTE_PGM_RSRC2:TGID_X_EN: 1
; COMPUTE_PGM_RSRC2:TGID_Y_EN: 1
; COMPUTE_PGM_RSRC2:TGID_Z_EN: 0
; COMPUTE_PGM_RSRC2:TIDIG_COMP_CNT: 0
	.section	.text._ZN9rocsparseL29bsrmmnn_small_blockdim_kernelILj64ELj8ELj2EllaaffEEv20rocsparse_direction_T3_S2_llNS_24const_host_device_scalarIT7_EEPKT2_PKS2_PKT4_PKT5_llS5_PT6_ll16rocsparse_order_21rocsparse_index_base_b,"axG",@progbits,_ZN9rocsparseL29bsrmmnn_small_blockdim_kernelILj64ELj8ELj2EllaaffEEv20rocsparse_direction_T3_S2_llNS_24const_host_device_scalarIT7_EEPKT2_PKS2_PKT4_PKT5_llS5_PT6_ll16rocsparse_order_21rocsparse_index_base_b,comdat
	.globl	_ZN9rocsparseL29bsrmmnn_small_blockdim_kernelILj64ELj8ELj2EllaaffEEv20rocsparse_direction_T3_S2_llNS_24const_host_device_scalarIT7_EEPKT2_PKS2_PKT4_PKT5_llS5_PT6_ll16rocsparse_order_21rocsparse_index_base_b ; -- Begin function _ZN9rocsparseL29bsrmmnn_small_blockdim_kernelILj64ELj8ELj2EllaaffEEv20rocsparse_direction_T3_S2_llNS_24const_host_device_scalarIT7_EEPKT2_PKS2_PKT4_PKT5_llS5_PT6_ll16rocsparse_order_21rocsparse_index_base_b
	.p2align	8
	.type	_ZN9rocsparseL29bsrmmnn_small_blockdim_kernelILj64ELj8ELj2EllaaffEEv20rocsparse_direction_T3_S2_llNS_24const_host_device_scalarIT7_EEPKT2_PKS2_PKT4_PKT5_llS5_PT6_ll16rocsparse_order_21rocsparse_index_base_b,@function
_ZN9rocsparseL29bsrmmnn_small_blockdim_kernelILj64ELj8ELj2EllaaffEEv20rocsparse_direction_T3_S2_llNS_24const_host_device_scalarIT7_EEPKT2_PKS2_PKT4_PKT5_llS5_PT6_ll16rocsparse_order_21rocsparse_index_base_b: ; @_ZN9rocsparseL29bsrmmnn_small_blockdim_kernelILj64ELj8ELj2EllaaffEEv20rocsparse_direction_T3_S2_llNS_24const_host_device_scalarIT7_EEPKT2_PKS2_PKT4_PKT5_llS5_PT6_ll16rocsparse_order_21rocsparse_index_base_b
; %bb.0:
	s_load_dwordx4 s[20:23], s[4:5], 0x80
	s_load_dwordx2 s[28:29], s[4:5], 0x28
	s_load_dwordx2 s[30:31], s[4:5], 0x60
	s_waitcnt lgkmcnt(0)
	s_bitcmp1_b32 s22, 0
	s_cselect_b64 s[2:3], -1, 0
	s_xor_b64 s[0:1], s[2:3], -1
	s_and_b64 vcc, exec, s[2:3]
	s_cbranch_vccnz .LBB20_2
; %bb.1:
	s_load_dword s28, s[28:29], 0x0
.LBB20_2:
	s_andn2_b64 vcc, exec, s[0:1]
	s_cbranch_vccnz .LBB20_4
; %bb.3:
	s_load_dword s30, s[30:31], 0x0
.LBB20_4:
	s_waitcnt lgkmcnt(0)
	v_cmp_eq_f32_e64 s[0:1], s28, 0
	v_cmp_eq_f32_e64 s[2:3], s30, 1.0
	s_and_b64 s[0:1], s[0:1], s[2:3]
	s_and_b64 vcc, exec, s[0:1]
	s_cbranch_vccnz .LBB20_28
; %bb.5:
	s_load_dword s0, s[4:5], 0x90
	s_load_dwordx4 s[16:19], s[4:5], 0x8
	s_add_u32 s1, s4, 0x90
	s_addc_u32 s3, s5, 0
	v_mov_b32_e32 v5, 0
	s_waitcnt lgkmcnt(0)
	s_cmp_lt_u32 s6, s0
	s_cselect_b32 s2, 12, 18
	s_add_u32 s2, s1, s2
	s_addc_u32 s3, s3, 0
	global_load_ushort v2, v5, s[2:3]
	s_waitcnt vmcnt(0)
	v_mul_lo_u32 v1, s6, v2
	v_add_u32_e32 v1, v1, v0
	v_lshrrev_b32_e32 v4, 4, v1
	v_cmp_gt_i64_e32 vcc, s[16:17], v[4:5]
	s_and_saveexec_b64 s[2:3], vcc
	s_cbranch_execz .LBB20_28
; %bb.6:
	v_mul_lo_u32 v2, s0, v2
	s_load_dwordx4 s[24:27], s[4:5], 0x68
	s_load_dwordx2 s[2:3], s[4:5], 0x50
	v_and_b32_e32 v17, 7, v1
	v_mov_b32_e32 v3, v5
	v_lshrrev_b32_e32 v18, 4, v2
	v_lshl_or_b32 v2, s7, 3, v17
	v_lshlrev_b64 v[6:7], 2, v[2:3]
	s_waitcnt lgkmcnt(0)
	v_mov_b32_e32 v8, s25
	v_add_co_u32_e32 v10, vcc, s24, v6
	v_lshrrev_b32_e32 v14, 3, v1
	v_addc_co_u32_e32 v11, vcc, v8, v7, vcc
	v_bfe_u32 v12, v1, 3, 1
	v_lshrrev_b32_e32 v8, 3, v0
	v_mad_u64_u32 v[0:1], s[0:1], v14, s26, 0
	v_lshlrev_b32_e32 v19, 6, v8
	v_mul_u32_u24_e32 v15, 24, v8
	v_mad_u64_u32 v[6:7], s[0:1], v14, s27, v[1:2]
	v_mad_u64_u32 v[8:9], s[0:1], s26, v2, 0
	v_mov_b32_e32 v1, v6
	v_lshlrev_b64 v[0:1], 2, v[0:1]
	s_load_dwordx8 s[8:15], s[4:5], 0x30
	v_add_co_u32_e32 v6, vcc, v10, v0
	v_mov_b32_e32 v0, v9
	v_addc_co_u32_e32 v7, vcc, v11, v1, vcc
	v_mad_u64_u32 v[0:1], s[0:1], s27, v2, v[0:1]
	v_cmp_gt_i64_e64 s[0:1], s[18:19], v[2:3]
	v_mov_b32_e32 v1, s25
	v_mov_b32_e32 v9, v0
	v_lshlrev_b32_e32 v0, 2, v14
	v_add_co_u32_e32 v3, vcc, s24, v0
	s_load_dword s4, s[4:5], 0x0
	v_addc_co_u32_e32 v10, vcc, 0, v1, vcc
	v_lshlrev_b64 v[0:1], 2, v[8:9]
	v_mov_b32_e32 v13, v5
	v_add_co_u32_e32 v8, vcc, v3, v0
	v_addc_co_u32_e32 v9, vcc, v10, v1, vcc
	s_waitcnt lgkmcnt(0)
	v_mov_b32_e32 v0, s14
	v_mov_b32_e32 v1, s15
	s_cmp_eq_u32 s4, 0
	v_mad_u64_u32 v[10:11], s[4:5], s2, v2, v[0:1]
	s_cselect_b64 s[34:35], -1, 0
	s_cmp_lg_u32 s20, 1
	v_mov_b32_e32 v0, v11
	v_mad_u64_u32 v[0:1], s[2:3], s3, v2, v[0:1]
	v_cndmask_b32_e64 v1, 0, 1, s[34:35]
	v_lshlrev_b64 v[1:2], v1, v[12:13]
	v_mov_b32_e32 v22, v0
	v_mov_b32_e32 v0, s13
	v_add_co_u32_e32 v23, vcc, s12, v1
	v_addc_co_u32_e32 v24, vcc, v0, v2, vcc
	v_or_b32_e32 v21, 0x200, v15
	v_mul_u32_u24_e32 v15, 3, v17
	s_cselect_b64 s[6:7], -1, 0
	s_and_b64 s[2:3], s[34:35], exec
	v_subrev_co_u32_e32 v25, vcc, s21, v17
	s_mov_b32 s22, s21
	v_lshl_or_b32 v20, v17, 3, v19
	v_cmp_neq_f32_e64 s[4:5], s30, 0
	s_cselect_b32 s20, 1, 2
	v_subb_co_u32_e64 v26, s[2:3], 0, 0, vcc
	s_mov_b64 s[12:13], 0
	v_add_u32_e32 v27, v21, v15
	s_branch .LBB20_8
.LBB20_7:                               ;   in Loop: Header=BB20_8 Depth=1
	s_or_b64 exec, exec, s[2:3]
	v_add_co_u32_e32 v4, vcc, v4, v18
	v_addc_co_u32_e32 v5, vcc, 0, v5, vcc
	v_cmp_le_i64_e32 vcc, s[16:17], v[4:5]
	s_or_b64 s[12:13], vcc, s[12:13]
	s_andn2_b64 exec, exec, s[12:13]
	s_cbranch_execz .LBB20_28
.LBB20_8:                               ; =>This Loop Header: Depth=1
                                        ;     Child Loop BB20_11 Depth 2
	v_lshlrev_b64 v[0:1], 3, v[4:5]
	v_mov_b32_e32 v2, s9
	v_add_co_u32_e32 v0, vcc, s8, v0
	v_addc_co_u32_e32 v1, vcc, v2, v1, vcc
	global_load_dwordx4 v[0:3], v[0:1], off
	v_mov_b32_e32 v28, 0
	s_waitcnt vmcnt(0)
	v_cmp_lt_i64_e32 vcc, v[0:1], v[2:3]
	s_and_saveexec_b64 s[14:15], vcc
	s_cbranch_execz .LBB20_16
; %bb.9:                                ;   in Loop: Header=BB20_8 Depth=1
	v_subrev_co_u32_e32 v2, vcc, s22, v2
	v_subbrev_co_u32_e32 v3, vcc, 0, v3, vcc
	v_subrev_co_u32_e32 v11, vcc, s22, v0
	v_subbrev_co_u32_e32 v12, vcc, 0, v1, vcc
	v_add_co_u32_e32 v13, vcc, v25, v0
	v_addc_co_u32_e32 v14, vcc, v26, v1, vcc
	v_lshlrev_b64 v[0:1], 3, v[13:14]
	v_mov_b32_e32 v15, s11
	v_add_co_u32_e32 v0, vcc, s10, v0
	v_lshlrev_b64 v[13:14], 2, v[13:14]
	v_addc_co_u32_e32 v1, vcc, v15, v1, vcc
	v_add_co_u32_e32 v13, vcc, v23, v13
	v_addc_co_u32_e32 v14, vcc, v24, v14, vcc
	v_mov_b32_e32 v28, 0
	s_mov_b64 s[18:19], 0
	s_branch .LBB20_11
.LBB20_10:                              ;   in Loop: Header=BB20_11 Depth=2
	s_or_b64 exec, exec, s[2:3]
	v_add_co_u32_e32 v11, vcc, 8, v11
	v_addc_co_u32_e32 v12, vcc, 0, v12, vcc
	v_cmp_ge_i64_e32 vcc, v[11:12], v[2:3]
	v_add_co_u32_e64 v0, s[2:3], 64, v0
	s_or_b64 s[18:19], vcc, s[18:19]
	v_add_co_u32_e32 v13, vcc, 32, v13
	v_addc_co_u32_e64 v1, s[2:3], 0, v1, s[2:3]
	v_addc_co_u32_e32 v14, vcc, 0, v14, vcc
	s_andn2_b64 exec, exec, s[18:19]
	s_cbranch_execz .LBB20_15
.LBB20_11:                              ;   Parent Loop BB20_8 Depth=1
                                        ; =>  This Inner Loop Header: Depth=2
	v_add_co_u32_e32 v15, vcc, v17, v11
	v_addc_co_u32_e32 v16, vcc, 0, v12, vcc
	v_cmp_lt_i64_e32 vcc, v[15:16], v[2:3]
	v_mov_b32_e32 v15, 0
	v_mov_b32_e32 v16, 0
	;; [unrolled: 1-line block ×4, first 2 shown]
	s_and_saveexec_b64 s[2:3], vcc
	s_cbranch_execz .LBB20_13
; %bb.12:                               ;   in Loop: Header=BB20_11 Depth=2
	global_load_dwordx2 v[15:16], v[0:1], off
	v_add_co_u32_e32 v31, vcc, s20, v13
	v_addc_co_u32_e32 v32, vcc, 0, v14, vcc
	global_load_ubyte v29, v[13:14], off
	global_load_ubyte v30, v[31:32], off
	s_waitcnt vmcnt(2)
	v_subrev_co_u32_e32 v15, vcc, s22, v15
	v_subbrev_co_u32_e32 v16, vcc, 0, v16, vcc
	v_lshlrev_b64 v[15:16], 1, v[15:16]
.LBB20_13:                              ;   in Loop: Header=BB20_11 Depth=2
	s_or_b64 exec, exec, s[2:3]
	ds_write_b64 v20, v[15:16]
	s_waitcnt vmcnt(1)
	ds_write_b8 v27, v29
	s_waitcnt vmcnt(0)
	ds_write_b8 v27, v30 offset:1
	s_waitcnt lgkmcnt(0)
	; wave barrier
	s_and_saveexec_b64 s[2:3], s[0:1]
	s_cbranch_execz .LBB20_10
; %bb.14:                               ;   in Loop: Header=BB20_11 Depth=2
	ds_read_b128 v[29:32], v19
	ds_read_b128 v[33:36], v19 offset:16
	ds_read_b128 v[37:40], v19 offset:32
	s_waitcnt lgkmcnt(2)
	v_add_co_u32_e32 v15, vcc, v10, v29
	v_addc_co_u32_e32 v16, vcc, v22, v30, vcc
	v_add_co_u32_e32 v29, vcc, v10, v31
	v_addc_co_u32_e32 v30, vcc, v22, v32, vcc
	s_waitcnt lgkmcnt(1)
	v_add_co_u32_e32 v31, vcc, v10, v33
	v_addc_co_u32_e32 v32, vcc, v22, v34, vcc
	v_add_co_u32_e32 v33, vcc, v10, v35
	v_addc_co_u32_e32 v34, vcc, v22, v36, vcc
	global_load_ushort v35, v[15:16], off
	global_load_ushort v36, v[29:30], off
	;; [unrolled: 1-line block ×4, first 2 shown]
	s_waitcnt lgkmcnt(0)
	v_add_co_u32_e32 v15, vcc, v10, v37
	v_addc_co_u32_e32 v16, vcc, v22, v38, vcc
	global_load_ushort v33, v[15:16], off
	v_add_co_u32_e32 v15, vcc, v10, v39
	ds_read_b128 v[29:32], v19 offset:48
	v_addc_co_u32_e32 v16, vcc, v22, v40, vcc
	global_load_ushort v34, v[15:16], off
	s_waitcnt lgkmcnt(0)
	v_add_co_u32_e32 v15, vcc, v10, v29
	v_addc_co_u32_e32 v16, vcc, v22, v30, vcc
	global_load_ushort v29, v[15:16], off
	v_add_co_u32_e32 v15, vcc, v10, v31
	v_addc_co_u32_e32 v16, vcc, v22, v32, vcc
	global_load_ushort v15, v[15:16], off
	ds_read_u16 v16, v21
	ds_read_i8 v30, v21 offset:3
	ds_read_i8 v31, v21 offset:4
	ds_read_u16 v32, v21 offset:6
	ds_read_i8 v37, v21 offset:9
	ds_read_i8 v38, v21 offset:10
	ds_read_u16 v39, v21 offset:12
	;; [unrolled: 3-line block ×3, first 2 shown]
	ds_read_i8 v45, v21 offset:21
	ds_read_i8 v46, v21 offset:22
	s_waitcnt lgkmcnt(11)
	v_bfe_i32 v47, v16, 0, 8
	v_ashrrev_i16_e32 v16, 8, v16
	v_cvt_f32_i32_sdwa v47, sext(v47) dst_sel:DWORD dst_unused:UNUSED_PAD src0_sel:WORD_0
	v_cvt_f32_i32_sdwa v16, sext(v16) dst_sel:DWORD dst_unused:UNUSED_PAD src0_sel:WORD_0
	s_waitcnt lgkmcnt(10)
	v_cvt_f32_i32_e32 v30, v30
	s_waitcnt lgkmcnt(9)
	v_cvt_f32_i32_e32 v31, v31
	s_waitcnt lgkmcnt(8)
	v_bfe_i32 v48, v32, 0, 8
	v_ashrrev_i16_e32 v32, 8, v32
	v_cvt_f32_i32_sdwa v48, sext(v48) dst_sel:DWORD dst_unused:UNUSED_PAD src0_sel:WORD_0
	v_cvt_f32_i32_sdwa v32, sext(v32) dst_sel:DWORD dst_unused:UNUSED_PAD src0_sel:WORD_0
	s_waitcnt lgkmcnt(7)
	v_cvt_f32_i32_e32 v37, v37
	s_waitcnt lgkmcnt(6)
	v_cvt_f32_i32_e32 v38, v38
	s_waitcnt lgkmcnt(5)
	v_bfe_i32 v49, v39, 0, 8
	v_ashrrev_i16_e32 v39, 8, v39
	v_cvt_f32_i32_sdwa v49, sext(v49) dst_sel:DWORD dst_unused:UNUSED_PAD src0_sel:WORD_0
	v_cvt_f32_i32_sdwa v39, sext(v39) dst_sel:DWORD dst_unused:UNUSED_PAD src0_sel:WORD_0
	s_waitcnt vmcnt(7)
	v_bfe_i32 v50, v35, 0, 8
	v_ashrrev_i16_e32 v35, 8, v35
	v_cvt_f32_i32_sdwa v50, sext(v50) dst_sel:DWORD dst_unused:UNUSED_PAD src0_sel:WORD_0
	s_waitcnt vmcnt(6)
	v_bfe_i32 v51, v36, 0, 8
	v_cvt_f32_i32_sdwa v35, sext(v35) dst_sel:DWORD dst_unused:UNUSED_PAD src0_sel:WORD_0
	v_ashrrev_i16_e32 v36, 8, v36
	v_cvt_f32_i32_sdwa v51, sext(v51) dst_sel:DWORD dst_unused:UNUSED_PAD src0_sel:WORD_0
	s_waitcnt vmcnt(5)
	v_bfe_i32 v52, v41, 0, 8
	v_cvt_f32_i32_sdwa v36, sext(v36) dst_sel:DWORD dst_unused:UNUSED_PAD src0_sel:WORD_0
	v_ashrrev_i16_e32 v41, 8, v41
	v_cvt_f32_i32_sdwa v52, sext(v52) dst_sel:DWORD dst_unused:UNUSED_PAD src0_sel:WORD_0
	v_fmac_f32_e32 v28, v47, v50
	s_waitcnt vmcnt(4)
	v_bfe_i32 v53, v42, 0, 8
	v_cvt_f32_i32_sdwa v41, sext(v41) dst_sel:DWORD dst_unused:UNUSED_PAD src0_sel:WORD_0
	v_fmac_f32_e32 v28, v16, v35
	v_ashrrev_i16_e32 v42, 8, v42
	v_cvt_f32_i32_sdwa v53, sext(v53) dst_sel:DWORD dst_unused:UNUSED_PAD src0_sel:WORD_0
	v_fmac_f32_e32 v28, v30, v51
	s_waitcnt vmcnt(3)
	v_bfe_i32 v54, v33, 0, 8
	v_cvt_f32_i32_sdwa v42, sext(v42) dst_sel:DWORD dst_unused:UNUSED_PAD src0_sel:WORD_0
	v_fmac_f32_e32 v28, v31, v36
	v_ashrrev_i16_e32 v33, 8, v33
	v_cvt_f32_i32_sdwa v54, sext(v54) dst_sel:DWORD dst_unused:UNUSED_PAD src0_sel:WORD_0
	v_fmac_f32_e32 v28, v48, v52
	v_cvt_f32_i32_sdwa v33, sext(v33) dst_sel:DWORD dst_unused:UNUSED_PAD src0_sel:WORD_0
	v_fmac_f32_e32 v28, v32, v41
	s_waitcnt vmcnt(2)
	v_bfe_i32 v30, v34, 0, 8
	v_fmac_f32_e32 v28, v37, v53
	s_waitcnt lgkmcnt(4)
	v_cvt_f32_i32_e32 v16, v40
	v_ashrrev_i16_e32 v31, 8, v34
	v_cvt_f32_i32_sdwa v30, sext(v30) dst_sel:DWORD dst_unused:UNUSED_PAD src0_sel:WORD_0
	v_fmac_f32_e32 v28, v38, v42
	s_waitcnt lgkmcnt(3)
	v_cvt_f32_i32_e32 v32, v43
	v_cvt_f32_i32_sdwa v31, sext(v31) dst_sel:DWORD dst_unused:UNUSED_PAD src0_sel:WORD_0
	v_fmac_f32_e32 v28, v49, v54
	v_fmac_f32_e32 v28, v39, v33
	;; [unrolled: 1-line block ×4, first 2 shown]
	s_waitcnt lgkmcnt(2)
	v_bfe_i32 v16, v44, 0, 8
	s_waitcnt vmcnt(1)
	v_bfe_i32 v31, v29, 0, 8
	v_ashrrev_i16_e32 v30, 8, v44
	v_cvt_f32_i32_sdwa v16, sext(v16) dst_sel:DWORD dst_unused:UNUSED_PAD src0_sel:WORD_0
	v_ashrrev_i16_e32 v29, 8, v29
	v_cvt_f32_i32_sdwa v31, sext(v31) dst_sel:DWORD dst_unused:UNUSED_PAD src0_sel:WORD_0
	v_cvt_f32_i32_sdwa v30, sext(v30) dst_sel:DWORD dst_unused:UNUSED_PAD src0_sel:WORD_0
	;; [unrolled: 1-line block ×3, first 2 shown]
	s_waitcnt vmcnt(0)
	v_bfe_i32 v33, v15, 0, 8
	s_waitcnt lgkmcnt(1)
	v_cvt_f32_i32_e32 v32, v45
	v_ashrrev_i16_e32 v15, 8, v15
	v_cvt_f32_i32_sdwa v33, sext(v33) dst_sel:DWORD dst_unused:UNUSED_PAD src0_sel:WORD_0
	s_waitcnt lgkmcnt(0)
	v_cvt_f32_i32_e32 v34, v46
	v_cvt_f32_i32_sdwa v15, sext(v15) dst_sel:DWORD dst_unused:UNUSED_PAD src0_sel:WORD_0
	v_fmac_f32_e32 v28, v16, v31
	v_fmac_f32_e32 v28, v30, v29
	;; [unrolled: 1-line block ×4, first 2 shown]
	s_branch .LBB20_10
.LBB20_15:                              ;   in Loop: Header=BB20_8 Depth=1
	s_or_b64 exec, exec, s[18:19]
.LBB20_16:                              ;   in Loop: Header=BB20_8 Depth=1
	s_or_b64 exec, exec, s[14:15]
	s_and_saveexec_b64 s[2:3], s[0:1]
	s_cbranch_execz .LBB20_7
; %bb.17:                               ;   in Loop: Header=BB20_8 Depth=1
	v_mul_f32_e32 v0, s28, v28
	s_mov_b64 s[14:15], -1
	s_and_b64 vcc, exec, s[4:5]
	s_cbranch_vccz .LBB20_23
; %bb.18:                               ;   in Loop: Header=BB20_8 Depth=1
	s_and_b64 vcc, exec, s[6:7]
	s_cbranch_vccz .LBB20_20
; %bb.19:                               ;   in Loop: Header=BB20_8 Depth=1
	global_load_dword v1, v[6:7], off
	s_mov_b64 s[14:15], 0
	s_waitcnt vmcnt(0)
	v_fma_f32 v1, s30, v1, v0
	global_store_dword v[6:7], v1, off
.LBB20_20:                              ;   in Loop: Header=BB20_8 Depth=1
	s_andn2_b64 vcc, exec, s[14:15]
	s_cbranch_vccnz .LBB20_22
; %bb.21:                               ;   in Loop: Header=BB20_8 Depth=1
	global_load_dword v1, v[8:9], off
	s_waitcnt vmcnt(0)
	v_fma_f32 v1, s30, v1, v0
	global_store_dword v[8:9], v1, off
.LBB20_22:                              ;   in Loop: Header=BB20_8 Depth=1
	s_mov_b64 s[14:15], 0
.LBB20_23:                              ;   in Loop: Header=BB20_8 Depth=1
	s_andn2_b64 vcc, exec, s[14:15]
	s_cbranch_vccnz .LBB20_7
; %bb.24:                               ;   in Loop: Header=BB20_8 Depth=1
	s_mov_b64 s[14:15], -1
	s_and_b64 vcc, exec, s[6:7]
	s_cbranch_vccz .LBB20_26
; %bb.25:                               ;   in Loop: Header=BB20_8 Depth=1
	global_store_dword v[6:7], v0, off
	s_mov_b64 s[14:15], 0
.LBB20_26:                              ;   in Loop: Header=BB20_8 Depth=1
	s_andn2_b64 vcc, exec, s[14:15]
	s_cbranch_vccnz .LBB20_7
; %bb.27:                               ;   in Loop: Header=BB20_8 Depth=1
	global_store_dword v[8:9], v0, off
	s_branch .LBB20_7
.LBB20_28:
	s_endpgm
	.section	.rodata,"a",@progbits
	.p2align	6, 0x0
	.amdhsa_kernel _ZN9rocsparseL29bsrmmnn_small_blockdim_kernelILj64ELj8ELj2EllaaffEEv20rocsparse_direction_T3_S2_llNS_24const_host_device_scalarIT7_EEPKT2_PKS2_PKT4_PKT5_llS5_PT6_ll16rocsparse_order_21rocsparse_index_base_b
		.amdhsa_group_segment_fixed_size 704
		.amdhsa_private_segment_fixed_size 0
		.amdhsa_kernarg_size 400
		.amdhsa_user_sgpr_count 6
		.amdhsa_user_sgpr_private_segment_buffer 1
		.amdhsa_user_sgpr_dispatch_ptr 0
		.amdhsa_user_sgpr_queue_ptr 0
		.amdhsa_user_sgpr_kernarg_segment_ptr 1
		.amdhsa_user_sgpr_dispatch_id 0
		.amdhsa_user_sgpr_flat_scratch_init 0
		.amdhsa_user_sgpr_private_segment_size 0
		.amdhsa_uses_dynamic_stack 0
		.amdhsa_system_sgpr_private_segment_wavefront_offset 0
		.amdhsa_system_sgpr_workgroup_id_x 1
		.amdhsa_system_sgpr_workgroup_id_y 1
		.amdhsa_system_sgpr_workgroup_id_z 0
		.amdhsa_system_sgpr_workgroup_info 0
		.amdhsa_system_vgpr_workitem_id 0
		.amdhsa_next_free_vgpr 55
		.amdhsa_next_free_sgpr 36
		.amdhsa_reserve_vcc 1
		.amdhsa_reserve_flat_scratch 0
		.amdhsa_float_round_mode_32 0
		.amdhsa_float_round_mode_16_64 0
		.amdhsa_float_denorm_mode_32 3
		.amdhsa_float_denorm_mode_16_64 3
		.amdhsa_dx10_clamp 1
		.amdhsa_ieee_mode 1
		.amdhsa_fp16_overflow 0
		.amdhsa_exception_fp_ieee_invalid_op 0
		.amdhsa_exception_fp_denorm_src 0
		.amdhsa_exception_fp_ieee_div_zero 0
		.amdhsa_exception_fp_ieee_overflow 0
		.amdhsa_exception_fp_ieee_underflow 0
		.amdhsa_exception_fp_ieee_inexact 0
		.amdhsa_exception_int_div_zero 0
	.end_amdhsa_kernel
	.section	.text._ZN9rocsparseL29bsrmmnn_small_blockdim_kernelILj64ELj8ELj2EllaaffEEv20rocsparse_direction_T3_S2_llNS_24const_host_device_scalarIT7_EEPKT2_PKS2_PKT4_PKT5_llS5_PT6_ll16rocsparse_order_21rocsparse_index_base_b,"axG",@progbits,_ZN9rocsparseL29bsrmmnn_small_blockdim_kernelILj64ELj8ELj2EllaaffEEv20rocsparse_direction_T3_S2_llNS_24const_host_device_scalarIT7_EEPKT2_PKS2_PKT4_PKT5_llS5_PT6_ll16rocsparse_order_21rocsparse_index_base_b,comdat
.Lfunc_end20:
	.size	_ZN9rocsparseL29bsrmmnn_small_blockdim_kernelILj64ELj8ELj2EllaaffEEv20rocsparse_direction_T3_S2_llNS_24const_host_device_scalarIT7_EEPKT2_PKS2_PKT4_PKT5_llS5_PT6_ll16rocsparse_order_21rocsparse_index_base_b, .Lfunc_end20-_ZN9rocsparseL29bsrmmnn_small_blockdim_kernelILj64ELj8ELj2EllaaffEEv20rocsparse_direction_T3_S2_llNS_24const_host_device_scalarIT7_EEPKT2_PKS2_PKT4_PKT5_llS5_PT6_ll16rocsparse_order_21rocsparse_index_base_b
                                        ; -- End function
	.set _ZN9rocsparseL29bsrmmnn_small_blockdim_kernelILj64ELj8ELj2EllaaffEEv20rocsparse_direction_T3_S2_llNS_24const_host_device_scalarIT7_EEPKT2_PKS2_PKT4_PKT5_llS5_PT6_ll16rocsparse_order_21rocsparse_index_base_b.num_vgpr, 55
	.set _ZN9rocsparseL29bsrmmnn_small_blockdim_kernelILj64ELj8ELj2EllaaffEEv20rocsparse_direction_T3_S2_llNS_24const_host_device_scalarIT7_EEPKT2_PKS2_PKT4_PKT5_llS5_PT6_ll16rocsparse_order_21rocsparse_index_base_b.num_agpr, 0
	.set _ZN9rocsparseL29bsrmmnn_small_blockdim_kernelILj64ELj8ELj2EllaaffEEv20rocsparse_direction_T3_S2_llNS_24const_host_device_scalarIT7_EEPKT2_PKS2_PKT4_PKT5_llS5_PT6_ll16rocsparse_order_21rocsparse_index_base_b.numbered_sgpr, 36
	.set _ZN9rocsparseL29bsrmmnn_small_blockdim_kernelILj64ELj8ELj2EllaaffEEv20rocsparse_direction_T3_S2_llNS_24const_host_device_scalarIT7_EEPKT2_PKS2_PKT4_PKT5_llS5_PT6_ll16rocsparse_order_21rocsparse_index_base_b.num_named_barrier, 0
	.set _ZN9rocsparseL29bsrmmnn_small_blockdim_kernelILj64ELj8ELj2EllaaffEEv20rocsparse_direction_T3_S2_llNS_24const_host_device_scalarIT7_EEPKT2_PKS2_PKT4_PKT5_llS5_PT6_ll16rocsparse_order_21rocsparse_index_base_b.private_seg_size, 0
	.set _ZN9rocsparseL29bsrmmnn_small_blockdim_kernelILj64ELj8ELj2EllaaffEEv20rocsparse_direction_T3_S2_llNS_24const_host_device_scalarIT7_EEPKT2_PKS2_PKT4_PKT5_llS5_PT6_ll16rocsparse_order_21rocsparse_index_base_b.uses_vcc, 1
	.set _ZN9rocsparseL29bsrmmnn_small_blockdim_kernelILj64ELj8ELj2EllaaffEEv20rocsparse_direction_T3_S2_llNS_24const_host_device_scalarIT7_EEPKT2_PKS2_PKT4_PKT5_llS5_PT6_ll16rocsparse_order_21rocsparse_index_base_b.uses_flat_scratch, 0
	.set _ZN9rocsparseL29bsrmmnn_small_blockdim_kernelILj64ELj8ELj2EllaaffEEv20rocsparse_direction_T3_S2_llNS_24const_host_device_scalarIT7_EEPKT2_PKS2_PKT4_PKT5_llS5_PT6_ll16rocsparse_order_21rocsparse_index_base_b.has_dyn_sized_stack, 0
	.set _ZN9rocsparseL29bsrmmnn_small_blockdim_kernelILj64ELj8ELj2EllaaffEEv20rocsparse_direction_T3_S2_llNS_24const_host_device_scalarIT7_EEPKT2_PKS2_PKT4_PKT5_llS5_PT6_ll16rocsparse_order_21rocsparse_index_base_b.has_recursion, 0
	.set _ZN9rocsparseL29bsrmmnn_small_blockdim_kernelILj64ELj8ELj2EllaaffEEv20rocsparse_direction_T3_S2_llNS_24const_host_device_scalarIT7_EEPKT2_PKS2_PKT4_PKT5_llS5_PT6_ll16rocsparse_order_21rocsparse_index_base_b.has_indirect_call, 0
	.section	.AMDGPU.csdata,"",@progbits
; Kernel info:
; codeLenInByte = 1844
; TotalNumSgprs: 40
; NumVgprs: 55
; ScratchSize: 0
; MemoryBound: 0
; FloatMode: 240
; IeeeMode: 1
; LDSByteSize: 704 bytes/workgroup (compile time only)
; SGPRBlocks: 4
; VGPRBlocks: 13
; NumSGPRsForWavesPerEU: 40
; NumVGPRsForWavesPerEU: 55
; Occupancy: 4
; WaveLimiterHint : 1
; COMPUTE_PGM_RSRC2:SCRATCH_EN: 0
; COMPUTE_PGM_RSRC2:USER_SGPR: 6
; COMPUTE_PGM_RSRC2:TRAP_HANDLER: 0
; COMPUTE_PGM_RSRC2:TGID_X_EN: 1
; COMPUTE_PGM_RSRC2:TGID_Y_EN: 1
; COMPUTE_PGM_RSRC2:TGID_Z_EN: 0
; COMPUTE_PGM_RSRC2:TIDIG_COMP_CNT: 0
	.section	.text._ZN9rocsparseL29bsrmmnt_small_blockdim_kernelILj64ELj8ELj2EiiffffEEv20rocsparse_direction_T3_S2_llNS_24const_host_device_scalarIT7_EEPKT2_PKS2_PKT4_PKT5_llS5_PT6_ll16rocsparse_order_21rocsparse_index_base_b,"axG",@progbits,_ZN9rocsparseL29bsrmmnt_small_blockdim_kernelILj64ELj8ELj2EiiffffEEv20rocsparse_direction_T3_S2_llNS_24const_host_device_scalarIT7_EEPKT2_PKS2_PKT4_PKT5_llS5_PT6_ll16rocsparse_order_21rocsparse_index_base_b,comdat
	.globl	_ZN9rocsparseL29bsrmmnt_small_blockdim_kernelILj64ELj8ELj2EiiffffEEv20rocsparse_direction_T3_S2_llNS_24const_host_device_scalarIT7_EEPKT2_PKS2_PKT4_PKT5_llS5_PT6_ll16rocsparse_order_21rocsparse_index_base_b ; -- Begin function _ZN9rocsparseL29bsrmmnt_small_blockdim_kernelILj64ELj8ELj2EiiffffEEv20rocsparse_direction_T3_S2_llNS_24const_host_device_scalarIT7_EEPKT2_PKS2_PKT4_PKT5_llS5_PT6_ll16rocsparse_order_21rocsparse_index_base_b
	.p2align	8
	.type	_ZN9rocsparseL29bsrmmnt_small_blockdim_kernelILj64ELj8ELj2EiiffffEEv20rocsparse_direction_T3_S2_llNS_24const_host_device_scalarIT7_EEPKT2_PKS2_PKT4_PKT5_llS5_PT6_ll16rocsparse_order_21rocsparse_index_base_b,@function
_ZN9rocsparseL29bsrmmnt_small_blockdim_kernelILj64ELj8ELj2EiiffffEEv20rocsparse_direction_T3_S2_llNS_24const_host_device_scalarIT7_EEPKT2_PKS2_PKT4_PKT5_llS5_PT6_ll16rocsparse_order_21rocsparse_index_base_b: ; @_ZN9rocsparseL29bsrmmnt_small_blockdim_kernelILj64ELj8ELj2EiiffffEEv20rocsparse_direction_T3_S2_llNS_24const_host_device_scalarIT7_EEPKT2_PKS2_PKT4_PKT5_llS5_PT6_ll16rocsparse_order_21rocsparse_index_base_b
; %bb.0:
	s_load_dwordx4 s[16:19], s[4:5], 0x78
	s_load_dwordx2 s[28:29], s[4:5], 0x20
	s_load_dwordx2 s[30:31], s[4:5], 0x58
	s_waitcnt lgkmcnt(0)
	s_bitcmp1_b32 s18, 0
	s_cselect_b64 s[2:3], -1, 0
	s_xor_b64 s[0:1], s[2:3], -1
	s_and_b64 vcc, exec, s[2:3]
	s_cbranch_vccnz .LBB21_2
; %bb.1:
	s_load_dword s28, s[28:29], 0x0
.LBB21_2:
	s_andn2_b64 vcc, exec, s[0:1]
	s_cbranch_vccnz .LBB21_4
; %bb.3:
	s_load_dword s30, s[30:31], 0x0
.LBB21_4:
	s_waitcnt lgkmcnt(0)
	v_cmp_eq_f32_e64 s[0:1], s28, 0
	v_cmp_eq_f32_e64 s[2:3], s30, 1.0
	s_and_b64 s[0:1], s[0:1], s[2:3]
	s_and_b64 vcc, exec, s[0:1]
	s_cbranch_vccnz .LBB21_30
; %bb.5:
	s_load_dword s0, s[4:5], 0x94
	s_load_dwordx4 s[20:23], s[4:5], 0x0
	s_waitcnt lgkmcnt(0)
	s_and_b32 s0, s0, 0xffff
	s_mul_i32 s6, s6, s0
	v_add_u32_e32 v1, s6, v0
	v_lshrrev_b32_e32 v2, 4, v1
	v_cmp_gt_i32_e32 vcc, s21, v2
	s_and_saveexec_b64 s[0:1], vcc
	s_cbranch_execz .LBB21_30
; %bb.6:
	s_cmp_lt_i32 s22, 1
	s_cbranch_scc1 .LBB21_30
; %bb.7:
	s_load_dwordx8 s[8:15], s[4:5], 0x28
	v_lshlrev_b32_e32 v2, 2, v2
	v_bfe_u32 v4, v1, 3, 1
	v_and_b32_e32 v6, 7, v0
	v_lshrrev_b32_e32 v0, 3, v0
	s_waitcnt lgkmcnt(0)
	global_load_dwordx2 v[2:3], v2, s[8:9]
	s_load_dwordx4 s[24:27], s[4:5], 0x60
	s_load_dwordx2 s[6:7], s[4:5], 0x48
	v_mov_b32_e32 v5, 0x300
	s_cmp_eq_u32 s20, 0
	v_lshrrev_b32_e32 v12, 3, v1
	v_lshl_or_b32 v7, v0, 5, v5
	v_lshlrev_b32_e32 v5, 1, v4
	s_cselect_b64 vcc, -1, 0
	v_or_b32_e32 v11, 2, v4
	v_mul_u32_u24_e32 v8, 0x60, v0
	v_or_b32_e32 v0, 1, v5
	v_cndmask_b32_e32 v10, v4, v5, vcc
	s_waitcnt lgkmcnt(0)
	v_mad_u64_u32 v[4:5], s[0:1], s26, v12, 0
	v_mov_b32_e32 v1, 0
	v_cndmask_b32_e32 v11, v11, v0, vcc
	v_mov_b32_e32 v0, v5
	v_mad_u64_u32 v[14:15], s[0:1], s27, v12, v[0:1]
	v_lshlrev_b32_e32 v13, 2, v12
	v_mov_b32_e32 v17, s25
	v_mov_b32_e32 v5, v14
	v_add_co_u32_e32 v12, vcc, s24, v13
	v_lshlrev_b64 v[4:5], 2, v[4:5]
	v_addc_co_u32_e32 v13, vcc, 0, v17, vcc
	v_mul_u32_u24_e32 v18, 12, v6
	s_cmp_lg_u32 s16, 1
	v_mov_b32_e32 v16, s25
	v_add_co_u32_e32 v14, vcc, s24, v4
	s_mov_b32 s23, 0
	v_cmp_neq_f32_e64 s[4:5], s30, 0
	v_lshl_or_b32 v9, v6, 2, v7
	s_cselect_b64 s[8:9], -1, 0
	v_addc_co_u32_e32 v15, vcc, v16, v5, vcc
	v_add_u32_e32 v18, v8, v18
	s_waitcnt vmcnt(0)
	v_subrev_u32_e32 v16, s17, v2
	v_subrev_u32_e32 v17, s17, v3
	v_cmp_lt_i32_e64 s[0:1], v2, v3
	s_branch .LBB21_9
.LBB21_8:                               ;   in Loop: Header=BB21_9 Depth=1
	s_or_b64 exec, exec, s[2:3]
	s_add_i32 s23, s23, 8
	s_cmp_lt_i32 s23, s22
	s_cbranch_scc0 .LBB21_30
.LBB21_9:                               ; =>This Loop Header: Depth=1
                                        ;     Child Loop BB21_12 Depth 2
                                        ;       Child Loop BB21_16 Depth 3
	v_or_b32_e32 v2, s23, v6
	v_ashrrev_i32_e32 v3, 31, v2
	v_mov_b32_e32 v19, v1
	s_and_saveexec_b64 s[18:19], s[0:1]
	s_cbranch_execz .LBB21_18
; %bb.10:                               ;   in Loop: Header=BB21_9 Depth=1
	v_lshlrev_b64 v[4:5], 2, v[2:3]
	v_mov_b32_e32 v0, s15
	v_add_co_u32_e64 v20, s[2:3], s14, v4
	v_cmp_gt_i32_e32 vcc, s22, v2
	v_addc_co_u32_e64 v21, s[2:3], v0, v5, s[2:3]
	v_mov_b32_e32 v19, 0
	s_mov_b64 s[20:21], 0
	v_mov_b32_e32 v22, v16
	s_branch .LBB21_12
.LBB21_11:                              ;   in Loop: Header=BB21_12 Depth=2
	s_or_b64 exec, exec, s[24:25]
	v_add_u32_e32 v22, 8, v22
	v_cmp_ge_i32_e64 s[2:3], v22, v17
	s_or_b64 s[20:21], s[2:3], s[20:21]
	s_andn2_b64 exec, exec, s[20:21]
	s_cbranch_execz .LBB21_17
.LBB21_12:                              ;   Parent Loop BB21_9 Depth=1
                                        ; =>  This Loop Header: Depth=2
                                        ;       Child Loop BB21_16 Depth 3
	v_add_u32_e32 v4, v22, v6
	v_cmp_lt_i32_e64 s[2:3], v4, v17
	v_mov_b32_e32 v23, 0
	v_mov_b32_e32 v0, 0
	;; [unrolled: 1-line block ×3, first 2 shown]
	s_and_saveexec_b64 s[24:25], s[2:3]
	s_cbranch_execz .LBB21_14
; %bb.13:                               ;   in Loop: Header=BB21_12 Depth=2
	v_ashrrev_i32_e32 v5, 31, v4
	v_lshlrev_b64 v[23:24], 2, v[4:5]
	v_mov_b32_e32 v0, s11
	v_add_co_u32_e64 v23, s[2:3], s10, v23
	v_lshlrev_b32_e32 v25, 2, v4
	v_addc_co_u32_e64 v24, s[2:3], v0, v24, s[2:3]
	v_or_b32_e32 v0, v25, v10
	v_lshlrev_b64 v[4:5], 2, v[0:1]
	global_load_dword v27, v[23:24], off
	v_mov_b32_e32 v0, s13
	v_add_co_u32_e64 v23, s[2:3], s12, v4
	v_addc_co_u32_e64 v24, s[2:3], v0, v5, s[2:3]
	v_or_b32_e32 v0, v25, v11
	v_lshlrev_b64 v[4:5], 2, v[0:1]
	v_mov_b32_e32 v0, s13
	v_add_co_u32_e64 v25, s[2:3], s12, v4
	v_addc_co_u32_e64 v26, s[2:3], v0, v5, s[2:3]
	global_load_dword v0, v[23:24], off
	global_load_dword v5, v[25:26], off
	s_waitcnt vmcnt(2)
	v_subrev_u32_e32 v4, s17, v27
	v_lshlrev_b32_e32 v23, 1, v4
.LBB21_14:                              ;   in Loop: Header=BB21_12 Depth=2
	s_or_b64 exec, exec, s[24:25]
	ds_write_b32 v9, v23
	s_waitcnt vmcnt(0)
	ds_write2_b32 v18, v0, v5 offset1:1
	s_waitcnt lgkmcnt(0)
	; wave barrier
	s_and_saveexec_b64 s[24:25], vcc
	s_cbranch_execz .LBB21_11
; %bb.15:                               ;   in Loop: Header=BB21_12 Depth=2
	s_mov_b32 s16, 0
	v_mov_b32_e32 v0, v8
.LBB21_16:                              ;   Parent Loop BB21_9 Depth=1
                                        ;     Parent Loop BB21_12 Depth=2
                                        ; =>    This Inner Loop Header: Depth=3
	v_add_u32_e32 v4, s16, v7
	ds_read_b64 v[4:5], v4
	s_add_i32 s16, s16, 8
	s_cmp_lg_u32 s16, 32
	s_waitcnt lgkmcnt(0)
	v_ashrrev_i32_e32 v23, 31, v4
	v_mul_lo_u32 v25, s6, v23
	v_mul_lo_u32 v26, s7, v4
	v_mad_u64_u32 v[23:24], s[2:3], s6, v4, 0
	v_add_u32_e32 v4, 1, v4
	v_mul_lo_u32 v27, s7, v4
	v_add3_u32 v24, v24, v25, v26
	v_lshlrev_b64 v[23:24], 2, v[23:24]
	v_add_co_u32_e64 v23, s[2:3], v20, v23
	v_addc_co_u32_e64 v24, s[2:3], v21, v24, s[2:3]
	global_load_dword v25, v[23:24], off
	ds_read_b64 v[23:24], v0
	s_waitcnt vmcnt(0) lgkmcnt(0)
	v_fmac_f32_e32 v19, v23, v25
	v_ashrrev_i32_e32 v23, 31, v4
	v_mul_lo_u32 v23, s6, v23
	v_mad_u64_u32 v[25:26], s[2:3], s6, v4, 0
	v_add3_u32 v26, v26, v23, v27
	v_lshlrev_b64 v[25:26], 2, v[25:26]
	v_add_co_u32_e64 v25, s[2:3], v20, v25
	v_addc_co_u32_e64 v26, s[2:3], v21, v26, s[2:3]
	global_load_dword v4, v[25:26], off
	v_mul_lo_u32 v25, s7, v5
	s_waitcnt vmcnt(0)
	v_fmac_f32_e32 v19, v24, v4
	v_ashrrev_i32_e32 v4, 31, v5
	v_mul_lo_u32 v4, s6, v4
	v_mad_u64_u32 v[23:24], s[2:3], s6, v5, 0
	v_add3_u32 v24, v24, v4, v25
	v_lshlrev_b64 v[23:24], 2, v[23:24]
	v_add_co_u32_e64 v23, s[2:3], v20, v23
	v_addc_co_u32_e64 v24, s[2:3], v21, v24, s[2:3]
	global_load_dword v4, v[23:24], off
	ds_read2_b32 v[23:24], v0 offset0:3 offset1:4
	v_add_u32_e32 v0, 24, v0
	s_waitcnt vmcnt(0) lgkmcnt(0)
	v_fmac_f32_e32 v19, v23, v4
	v_add_u32_e32 v4, 1, v5
	v_ashrrev_i32_e32 v5, 31, v4
	v_mul_lo_u32 v23, s6, v5
	v_mul_lo_u32 v25, s7, v4
	v_mad_u64_u32 v[4:5], s[2:3], s6, v4, 0
	v_add3_u32 v5, v5, v23, v25
	v_lshlrev_b64 v[4:5], 2, v[4:5]
	v_add_co_u32_e64 v4, s[2:3], v20, v4
	v_addc_co_u32_e64 v5, s[2:3], v21, v5, s[2:3]
	global_load_dword v4, v[4:5], off
	s_waitcnt vmcnt(0)
	v_fmac_f32_e32 v19, v24, v4
	s_cbranch_scc1 .LBB21_16
	s_branch .LBB21_11
.LBB21_17:                              ;   in Loop: Header=BB21_9 Depth=1
	s_or_b64 exec, exec, s[20:21]
.LBB21_18:                              ;   in Loop: Header=BB21_9 Depth=1
	s_or_b64 exec, exec, s[18:19]
	v_cmp_gt_i32_e32 vcc, s22, v2
	s_and_saveexec_b64 s[2:3], vcc
	s_cbranch_execz .LBB21_8
; %bb.19:                               ;   in Loop: Header=BB21_9 Depth=1
	s_mov_b64 s[18:19], -1
	s_and_b64 vcc, exec, s[4:5]
	s_cbranch_vccz .LBB21_25
; %bb.20:                               ;   in Loop: Header=BB21_9 Depth=1
	s_and_b64 vcc, exec, s[8:9]
	s_cbranch_vccz .LBB21_22
; %bb.21:                               ;   in Loop: Header=BB21_9 Depth=1
	v_lshlrev_b64 v[4:5], 2, v[2:3]
	v_mul_f32_e32 v20, s28, v19
	v_add_co_u32_e32 v4, vcc, v14, v4
	v_addc_co_u32_e32 v5, vcc, v15, v5, vcc
	global_load_dword v0, v[4:5], off
	s_mov_b64 s[18:19], 0
	s_waitcnt vmcnt(0)
	v_fmac_f32_e32 v20, s30, v0
	global_store_dword v[4:5], v20, off
.LBB21_22:                              ;   in Loop: Header=BB21_9 Depth=1
	s_andn2_b64 vcc, exec, s[18:19]
	s_cbranch_vccnz .LBB21_24
; %bb.23:                               ;   in Loop: Header=BB21_9 Depth=1
	v_mul_lo_u32 v0, s27, v2
	v_mul_lo_u32 v20, s26, v3
	v_mad_u64_u32 v[4:5], s[18:19], s26, v2, 0
	v_add3_u32 v5, v5, v20, v0
	v_lshlrev_b64 v[4:5], 2, v[4:5]
	v_mul_f32_e32 v20, s28, v19
	v_add_co_u32_e32 v4, vcc, v12, v4
	v_addc_co_u32_e32 v5, vcc, v13, v5, vcc
	global_load_dword v0, v[4:5], off
	s_waitcnt vmcnt(0)
	v_fmac_f32_e32 v20, s30, v0
	global_store_dword v[4:5], v20, off
.LBB21_24:                              ;   in Loop: Header=BB21_9 Depth=1
	s_mov_b64 s[18:19], 0
.LBB21_25:                              ;   in Loop: Header=BB21_9 Depth=1
	s_andn2_b64 vcc, exec, s[18:19]
	s_cbranch_vccnz .LBB21_8
; %bb.26:                               ;   in Loop: Header=BB21_9 Depth=1
	v_mul_f32_e32 v0, s28, v19
	s_mov_b64 s[18:19], -1
	s_and_b64 vcc, exec, s[8:9]
	s_cbranch_vccz .LBB21_28
; %bb.27:                               ;   in Loop: Header=BB21_9 Depth=1
	v_lshlrev_b64 v[4:5], 2, v[2:3]
	s_mov_b64 s[18:19], 0
	v_add_co_u32_e32 v4, vcc, v14, v4
	v_addc_co_u32_e32 v5, vcc, v15, v5, vcc
	global_store_dword v[4:5], v0, off
.LBB21_28:                              ;   in Loop: Header=BB21_9 Depth=1
	s_andn2_b64 vcc, exec, s[18:19]
	s_cbranch_vccnz .LBB21_8
; %bb.29:                               ;   in Loop: Header=BB21_9 Depth=1
	v_mul_lo_u32 v4, s27, v2
	v_mul_lo_u32 v5, s26, v3
	v_mad_u64_u32 v[2:3], s[18:19], s26, v2, 0
	v_add3_u32 v3, v3, v5, v4
	v_lshlrev_b64 v[2:3], 2, v[2:3]
	v_add_co_u32_e32 v2, vcc, v12, v2
	v_addc_co_u32_e32 v3, vcc, v13, v3, vcc
	global_store_dword v[2:3], v0, off
	s_branch .LBB21_8
.LBB21_30:
	s_endpgm
	.section	.rodata,"a",@progbits
	.p2align	6, 0x0
	.amdhsa_kernel _ZN9rocsparseL29bsrmmnt_small_blockdim_kernelILj64ELj8ELj2EiiffffEEv20rocsparse_direction_T3_S2_llNS_24const_host_device_scalarIT7_EEPKT2_PKS2_PKT4_PKT5_llS5_PT6_ll16rocsparse_order_21rocsparse_index_base_b
		.amdhsa_group_segment_fixed_size 1024
		.amdhsa_private_segment_fixed_size 0
		.amdhsa_kernarg_size 392
		.amdhsa_user_sgpr_count 6
		.amdhsa_user_sgpr_private_segment_buffer 1
		.amdhsa_user_sgpr_dispatch_ptr 0
		.amdhsa_user_sgpr_queue_ptr 0
		.amdhsa_user_sgpr_kernarg_segment_ptr 1
		.amdhsa_user_sgpr_dispatch_id 0
		.amdhsa_user_sgpr_flat_scratch_init 0
		.amdhsa_user_sgpr_private_segment_size 0
		.amdhsa_uses_dynamic_stack 0
		.amdhsa_system_sgpr_private_segment_wavefront_offset 0
		.amdhsa_system_sgpr_workgroup_id_x 1
		.amdhsa_system_sgpr_workgroup_id_y 0
		.amdhsa_system_sgpr_workgroup_id_z 0
		.amdhsa_system_sgpr_workgroup_info 0
		.amdhsa_system_vgpr_workitem_id 0
		.amdhsa_next_free_vgpr 28
		.amdhsa_next_free_sgpr 32
		.amdhsa_reserve_vcc 1
		.amdhsa_reserve_flat_scratch 0
		.amdhsa_float_round_mode_32 0
		.amdhsa_float_round_mode_16_64 0
		.amdhsa_float_denorm_mode_32 3
		.amdhsa_float_denorm_mode_16_64 3
		.amdhsa_dx10_clamp 1
		.amdhsa_ieee_mode 1
		.amdhsa_fp16_overflow 0
		.amdhsa_exception_fp_ieee_invalid_op 0
		.amdhsa_exception_fp_denorm_src 0
		.amdhsa_exception_fp_ieee_div_zero 0
		.amdhsa_exception_fp_ieee_overflow 0
		.amdhsa_exception_fp_ieee_underflow 0
		.amdhsa_exception_fp_ieee_inexact 0
		.amdhsa_exception_int_div_zero 0
	.end_amdhsa_kernel
	.section	.text._ZN9rocsparseL29bsrmmnt_small_blockdim_kernelILj64ELj8ELj2EiiffffEEv20rocsparse_direction_T3_S2_llNS_24const_host_device_scalarIT7_EEPKT2_PKS2_PKT4_PKT5_llS5_PT6_ll16rocsparse_order_21rocsparse_index_base_b,"axG",@progbits,_ZN9rocsparseL29bsrmmnt_small_blockdim_kernelILj64ELj8ELj2EiiffffEEv20rocsparse_direction_T3_S2_llNS_24const_host_device_scalarIT7_EEPKT2_PKS2_PKT4_PKT5_llS5_PT6_ll16rocsparse_order_21rocsparse_index_base_b,comdat
.Lfunc_end21:
	.size	_ZN9rocsparseL29bsrmmnt_small_blockdim_kernelILj64ELj8ELj2EiiffffEEv20rocsparse_direction_T3_S2_llNS_24const_host_device_scalarIT7_EEPKT2_PKS2_PKT4_PKT5_llS5_PT6_ll16rocsparse_order_21rocsparse_index_base_b, .Lfunc_end21-_ZN9rocsparseL29bsrmmnt_small_blockdim_kernelILj64ELj8ELj2EiiffffEEv20rocsparse_direction_T3_S2_llNS_24const_host_device_scalarIT7_EEPKT2_PKS2_PKT4_PKT5_llS5_PT6_ll16rocsparse_order_21rocsparse_index_base_b
                                        ; -- End function
	.set _ZN9rocsparseL29bsrmmnt_small_blockdim_kernelILj64ELj8ELj2EiiffffEEv20rocsparse_direction_T3_S2_llNS_24const_host_device_scalarIT7_EEPKT2_PKS2_PKT4_PKT5_llS5_PT6_ll16rocsparse_order_21rocsparse_index_base_b.num_vgpr, 28
	.set _ZN9rocsparseL29bsrmmnt_small_blockdim_kernelILj64ELj8ELj2EiiffffEEv20rocsparse_direction_T3_S2_llNS_24const_host_device_scalarIT7_EEPKT2_PKS2_PKT4_PKT5_llS5_PT6_ll16rocsparse_order_21rocsparse_index_base_b.num_agpr, 0
	.set _ZN9rocsparseL29bsrmmnt_small_blockdim_kernelILj64ELj8ELj2EiiffffEEv20rocsparse_direction_T3_S2_llNS_24const_host_device_scalarIT7_EEPKT2_PKS2_PKT4_PKT5_llS5_PT6_ll16rocsparse_order_21rocsparse_index_base_b.numbered_sgpr, 32
	.set _ZN9rocsparseL29bsrmmnt_small_blockdim_kernelILj64ELj8ELj2EiiffffEEv20rocsparse_direction_T3_S2_llNS_24const_host_device_scalarIT7_EEPKT2_PKS2_PKT4_PKT5_llS5_PT6_ll16rocsparse_order_21rocsparse_index_base_b.num_named_barrier, 0
	.set _ZN9rocsparseL29bsrmmnt_small_blockdim_kernelILj64ELj8ELj2EiiffffEEv20rocsparse_direction_T3_S2_llNS_24const_host_device_scalarIT7_EEPKT2_PKS2_PKT4_PKT5_llS5_PT6_ll16rocsparse_order_21rocsparse_index_base_b.private_seg_size, 0
	.set _ZN9rocsparseL29bsrmmnt_small_blockdim_kernelILj64ELj8ELj2EiiffffEEv20rocsparse_direction_T3_S2_llNS_24const_host_device_scalarIT7_EEPKT2_PKS2_PKT4_PKT5_llS5_PT6_ll16rocsparse_order_21rocsparse_index_base_b.uses_vcc, 1
	.set _ZN9rocsparseL29bsrmmnt_small_blockdim_kernelILj64ELj8ELj2EiiffffEEv20rocsparse_direction_T3_S2_llNS_24const_host_device_scalarIT7_EEPKT2_PKS2_PKT4_PKT5_llS5_PT6_ll16rocsparse_order_21rocsparse_index_base_b.uses_flat_scratch, 0
	.set _ZN9rocsparseL29bsrmmnt_small_blockdim_kernelILj64ELj8ELj2EiiffffEEv20rocsparse_direction_T3_S2_llNS_24const_host_device_scalarIT7_EEPKT2_PKS2_PKT4_PKT5_llS5_PT6_ll16rocsparse_order_21rocsparse_index_base_b.has_dyn_sized_stack, 0
	.set _ZN9rocsparseL29bsrmmnt_small_blockdim_kernelILj64ELj8ELj2EiiffffEEv20rocsparse_direction_T3_S2_llNS_24const_host_device_scalarIT7_EEPKT2_PKS2_PKT4_PKT5_llS5_PT6_ll16rocsparse_order_21rocsparse_index_base_b.has_recursion, 0
	.set _ZN9rocsparseL29bsrmmnt_small_blockdim_kernelILj64ELj8ELj2EiiffffEEv20rocsparse_direction_T3_S2_llNS_24const_host_device_scalarIT7_EEPKT2_PKS2_PKT4_PKT5_llS5_PT6_ll16rocsparse_order_21rocsparse_index_base_b.has_indirect_call, 0
	.section	.AMDGPU.csdata,"",@progbits
; Kernel info:
; codeLenInByte = 1392
; TotalNumSgprs: 36
; NumVgprs: 28
; ScratchSize: 0
; MemoryBound: 0
; FloatMode: 240
; IeeeMode: 1
; LDSByteSize: 1024 bytes/workgroup (compile time only)
; SGPRBlocks: 4
; VGPRBlocks: 6
; NumSGPRsForWavesPerEU: 36
; NumVGPRsForWavesPerEU: 28
; Occupancy: 9
; WaveLimiterHint : 0
; COMPUTE_PGM_RSRC2:SCRATCH_EN: 0
; COMPUTE_PGM_RSRC2:USER_SGPR: 6
; COMPUTE_PGM_RSRC2:TRAP_HANDLER: 0
; COMPUTE_PGM_RSRC2:TGID_X_EN: 1
; COMPUTE_PGM_RSRC2:TGID_Y_EN: 0
; COMPUTE_PGM_RSRC2:TGID_Z_EN: 0
; COMPUTE_PGM_RSRC2:TIDIG_COMP_CNT: 0
	.section	.text._ZN9rocsparseL29bsrmmnt_small_blockdim_kernelILj64ELj16ELj2EiiffffEEv20rocsparse_direction_T3_S2_llNS_24const_host_device_scalarIT7_EEPKT2_PKS2_PKT4_PKT5_llS5_PT6_ll16rocsparse_order_21rocsparse_index_base_b,"axG",@progbits,_ZN9rocsparseL29bsrmmnt_small_blockdim_kernelILj64ELj16ELj2EiiffffEEv20rocsparse_direction_T3_S2_llNS_24const_host_device_scalarIT7_EEPKT2_PKS2_PKT4_PKT5_llS5_PT6_ll16rocsparse_order_21rocsparse_index_base_b,comdat
	.globl	_ZN9rocsparseL29bsrmmnt_small_blockdim_kernelILj64ELj16ELj2EiiffffEEv20rocsparse_direction_T3_S2_llNS_24const_host_device_scalarIT7_EEPKT2_PKS2_PKT4_PKT5_llS5_PT6_ll16rocsparse_order_21rocsparse_index_base_b ; -- Begin function _ZN9rocsparseL29bsrmmnt_small_blockdim_kernelILj64ELj16ELj2EiiffffEEv20rocsparse_direction_T3_S2_llNS_24const_host_device_scalarIT7_EEPKT2_PKS2_PKT4_PKT5_llS5_PT6_ll16rocsparse_order_21rocsparse_index_base_b
	.p2align	8
	.type	_ZN9rocsparseL29bsrmmnt_small_blockdim_kernelILj64ELj16ELj2EiiffffEEv20rocsparse_direction_T3_S2_llNS_24const_host_device_scalarIT7_EEPKT2_PKS2_PKT4_PKT5_llS5_PT6_ll16rocsparse_order_21rocsparse_index_base_b,@function
_ZN9rocsparseL29bsrmmnt_small_blockdim_kernelILj64ELj16ELj2EiiffffEEv20rocsparse_direction_T3_S2_llNS_24const_host_device_scalarIT7_EEPKT2_PKS2_PKT4_PKT5_llS5_PT6_ll16rocsparse_order_21rocsparse_index_base_b: ; @_ZN9rocsparseL29bsrmmnt_small_blockdim_kernelILj64ELj16ELj2EiiffffEEv20rocsparse_direction_T3_S2_llNS_24const_host_device_scalarIT7_EEPKT2_PKS2_PKT4_PKT5_llS5_PT6_ll16rocsparse_order_21rocsparse_index_base_b
; %bb.0:
	s_load_dwordx4 s[16:19], s[4:5], 0x78
	s_load_dwordx2 s[28:29], s[4:5], 0x20
	s_load_dwordx2 s[30:31], s[4:5], 0x58
	s_waitcnt lgkmcnt(0)
	s_bitcmp1_b32 s18, 0
	s_cselect_b64 s[2:3], -1, 0
	s_xor_b64 s[0:1], s[2:3], -1
	s_and_b64 vcc, exec, s[2:3]
	s_cbranch_vccnz .LBB22_2
; %bb.1:
	s_load_dword s28, s[28:29], 0x0
.LBB22_2:
	s_andn2_b64 vcc, exec, s[0:1]
	s_cbranch_vccnz .LBB22_4
; %bb.3:
	s_load_dword s30, s[30:31], 0x0
.LBB22_4:
	s_waitcnt lgkmcnt(0)
	v_cmp_eq_f32_e64 s[0:1], s28, 0
	v_cmp_eq_f32_e64 s[2:3], s30, 1.0
	s_and_b64 s[0:1], s[0:1], s[2:3]
	s_and_b64 vcc, exec, s[0:1]
	s_cbranch_vccnz .LBB22_30
; %bb.5:
	s_load_dword s0, s[4:5], 0x94
	s_load_dwordx4 s[20:23], s[4:5], 0x0
	s_waitcnt lgkmcnt(0)
	s_and_b32 s0, s0, 0xffff
	s_mul_i32 s6, s6, s0
	v_add_u32_e32 v1, s6, v0
	v_lshrrev_b32_e32 v2, 5, v1
	v_cmp_gt_i32_e32 vcc, s21, v2
	s_and_saveexec_b64 s[0:1], vcc
	s_cbranch_execz .LBB22_30
; %bb.6:
	s_cmp_lt_i32 s22, 1
	s_cbranch_scc1 .LBB22_30
; %bb.7:
	s_load_dwordx8 s[8:15], s[4:5], 0x28
	v_lshlrev_b32_e32 v2, 2, v2
	v_bfe_u32 v4, v1, 4, 1
	v_and_b32_e32 v6, 15, v0
	v_lshrrev_b32_e32 v0, 4, v0
	s_waitcnt lgkmcnt(0)
	global_load_dwordx2 v[2:3], v2, s[8:9]
	s_load_dwordx4 s[24:27], s[4:5], 0x60
	s_load_dwordx2 s[6:7], s[4:5], 0x48
	v_mov_b32_e32 v5, 0x300
	s_cmp_eq_u32 s20, 0
	v_lshrrev_b32_e32 v12, 4, v1
	v_lshl_or_b32 v7, v0, 6, v5
	v_lshlrev_b32_e32 v5, 1, v4
	s_cselect_b64 vcc, -1, 0
	v_or_b32_e32 v11, 2, v4
	v_mul_u32_u24_e32 v8, 0xc0, v0
	v_or_b32_e32 v0, 1, v5
	v_cndmask_b32_e32 v10, v4, v5, vcc
	s_waitcnt lgkmcnt(0)
	v_mad_u64_u32 v[4:5], s[0:1], s26, v12, 0
	v_mov_b32_e32 v1, 0
	v_cndmask_b32_e32 v11, v11, v0, vcc
	v_mov_b32_e32 v0, v5
	v_mad_u64_u32 v[14:15], s[0:1], s27, v12, v[0:1]
	v_lshlrev_b32_e32 v13, 2, v12
	v_mov_b32_e32 v17, s25
	v_mov_b32_e32 v5, v14
	v_add_co_u32_e32 v12, vcc, s24, v13
	v_lshlrev_b64 v[4:5], 2, v[4:5]
	v_addc_co_u32_e32 v13, vcc, 0, v17, vcc
	v_mul_u32_u24_e32 v18, 12, v6
	s_cmp_lg_u32 s16, 1
	v_mov_b32_e32 v16, s25
	v_add_co_u32_e32 v14, vcc, s24, v4
	s_mov_b32 s23, 0
	v_cmp_neq_f32_e64 s[4:5], s30, 0
	v_lshl_or_b32 v9, v6, 2, v7
	s_cselect_b64 s[8:9], -1, 0
	v_addc_co_u32_e32 v15, vcc, v16, v5, vcc
	v_add_u32_e32 v18, v8, v18
	s_waitcnt vmcnt(0)
	v_subrev_u32_e32 v16, s17, v2
	v_subrev_u32_e32 v17, s17, v3
	v_cmp_lt_i32_e64 s[0:1], v2, v3
	s_branch .LBB22_9
.LBB22_8:                               ;   in Loop: Header=BB22_9 Depth=1
	s_or_b64 exec, exec, s[2:3]
	s_add_i32 s23, s23, 16
	s_cmp_lt_i32 s23, s22
	s_cbranch_scc0 .LBB22_30
.LBB22_9:                               ; =>This Loop Header: Depth=1
                                        ;     Child Loop BB22_12 Depth 2
                                        ;       Child Loop BB22_16 Depth 3
	v_or_b32_e32 v2, s23, v6
	v_ashrrev_i32_e32 v3, 31, v2
	v_mov_b32_e32 v19, v1
	s_and_saveexec_b64 s[18:19], s[0:1]
	s_cbranch_execz .LBB22_18
; %bb.10:                               ;   in Loop: Header=BB22_9 Depth=1
	v_lshlrev_b64 v[4:5], 2, v[2:3]
	v_mov_b32_e32 v0, s15
	v_add_co_u32_e64 v20, s[2:3], s14, v4
	v_cmp_gt_i32_e32 vcc, s22, v2
	v_addc_co_u32_e64 v21, s[2:3], v0, v5, s[2:3]
	v_mov_b32_e32 v19, 0
	s_mov_b64 s[20:21], 0
	v_mov_b32_e32 v22, v16
	s_branch .LBB22_12
.LBB22_11:                              ;   in Loop: Header=BB22_12 Depth=2
	s_or_b64 exec, exec, s[24:25]
	v_add_u32_e32 v22, 16, v22
	v_cmp_ge_i32_e64 s[2:3], v22, v17
	s_or_b64 s[20:21], s[2:3], s[20:21]
	s_andn2_b64 exec, exec, s[20:21]
	s_cbranch_execz .LBB22_17
.LBB22_12:                              ;   Parent Loop BB22_9 Depth=1
                                        ; =>  This Loop Header: Depth=2
                                        ;       Child Loop BB22_16 Depth 3
	v_add_u32_e32 v4, v22, v6
	v_cmp_lt_i32_e64 s[2:3], v4, v17
	v_mov_b32_e32 v23, 0
	v_mov_b32_e32 v0, 0
	;; [unrolled: 1-line block ×3, first 2 shown]
	s_and_saveexec_b64 s[24:25], s[2:3]
	s_cbranch_execz .LBB22_14
; %bb.13:                               ;   in Loop: Header=BB22_12 Depth=2
	v_ashrrev_i32_e32 v5, 31, v4
	v_lshlrev_b64 v[23:24], 2, v[4:5]
	v_mov_b32_e32 v0, s11
	v_add_co_u32_e64 v23, s[2:3], s10, v23
	v_lshlrev_b32_e32 v25, 2, v4
	v_addc_co_u32_e64 v24, s[2:3], v0, v24, s[2:3]
	v_or_b32_e32 v0, v25, v10
	v_lshlrev_b64 v[4:5], 2, v[0:1]
	global_load_dword v27, v[23:24], off
	v_mov_b32_e32 v0, s13
	v_add_co_u32_e64 v23, s[2:3], s12, v4
	v_addc_co_u32_e64 v24, s[2:3], v0, v5, s[2:3]
	v_or_b32_e32 v0, v25, v11
	v_lshlrev_b64 v[4:5], 2, v[0:1]
	v_mov_b32_e32 v0, s13
	v_add_co_u32_e64 v25, s[2:3], s12, v4
	v_addc_co_u32_e64 v26, s[2:3], v0, v5, s[2:3]
	global_load_dword v0, v[23:24], off
	global_load_dword v5, v[25:26], off
	s_waitcnt vmcnt(2)
	v_subrev_u32_e32 v4, s17, v27
	v_lshlrev_b32_e32 v23, 1, v4
.LBB22_14:                              ;   in Loop: Header=BB22_12 Depth=2
	s_or_b64 exec, exec, s[24:25]
	ds_write_b32 v9, v23
	s_waitcnt vmcnt(0)
	ds_write2_b32 v18, v0, v5 offset1:1
	s_waitcnt lgkmcnt(0)
	; wave barrier
	s_and_saveexec_b64 s[24:25], vcc
	s_cbranch_execz .LBB22_11
; %bb.15:                               ;   in Loop: Header=BB22_12 Depth=2
	s_mov_b32 s16, 0
	v_mov_b32_e32 v0, v8
.LBB22_16:                              ;   Parent Loop BB22_9 Depth=1
                                        ;     Parent Loop BB22_12 Depth=2
                                        ; =>    This Inner Loop Header: Depth=3
	v_add_u32_e32 v4, s16, v7
	ds_read_b64 v[4:5], v4
	s_add_i32 s16, s16, 8
	s_cmp_lg_u32 s16, 64
	s_waitcnt lgkmcnt(0)
	v_ashrrev_i32_e32 v23, 31, v4
	v_mul_lo_u32 v25, s6, v23
	v_mul_lo_u32 v26, s7, v4
	v_mad_u64_u32 v[23:24], s[2:3], s6, v4, 0
	v_add_u32_e32 v4, 1, v4
	v_mul_lo_u32 v27, s7, v4
	v_add3_u32 v24, v24, v25, v26
	v_lshlrev_b64 v[23:24], 2, v[23:24]
	v_add_co_u32_e64 v23, s[2:3], v20, v23
	v_addc_co_u32_e64 v24, s[2:3], v21, v24, s[2:3]
	global_load_dword v25, v[23:24], off
	ds_read_b64 v[23:24], v0
	s_waitcnt vmcnt(0) lgkmcnt(0)
	v_fmac_f32_e32 v19, v23, v25
	v_ashrrev_i32_e32 v23, 31, v4
	v_mul_lo_u32 v23, s6, v23
	v_mad_u64_u32 v[25:26], s[2:3], s6, v4, 0
	v_add3_u32 v26, v26, v23, v27
	v_lshlrev_b64 v[25:26], 2, v[25:26]
	v_add_co_u32_e64 v25, s[2:3], v20, v25
	v_addc_co_u32_e64 v26, s[2:3], v21, v26, s[2:3]
	global_load_dword v4, v[25:26], off
	v_mul_lo_u32 v25, s7, v5
	s_waitcnt vmcnt(0)
	v_fmac_f32_e32 v19, v24, v4
	v_ashrrev_i32_e32 v4, 31, v5
	v_mul_lo_u32 v4, s6, v4
	v_mad_u64_u32 v[23:24], s[2:3], s6, v5, 0
	v_add3_u32 v24, v24, v4, v25
	v_lshlrev_b64 v[23:24], 2, v[23:24]
	v_add_co_u32_e64 v23, s[2:3], v20, v23
	v_addc_co_u32_e64 v24, s[2:3], v21, v24, s[2:3]
	global_load_dword v4, v[23:24], off
	ds_read2_b32 v[23:24], v0 offset0:3 offset1:4
	v_add_u32_e32 v0, 24, v0
	s_waitcnt vmcnt(0) lgkmcnt(0)
	v_fmac_f32_e32 v19, v23, v4
	v_add_u32_e32 v4, 1, v5
	v_ashrrev_i32_e32 v5, 31, v4
	v_mul_lo_u32 v23, s6, v5
	v_mul_lo_u32 v25, s7, v4
	v_mad_u64_u32 v[4:5], s[2:3], s6, v4, 0
	v_add3_u32 v5, v5, v23, v25
	v_lshlrev_b64 v[4:5], 2, v[4:5]
	v_add_co_u32_e64 v4, s[2:3], v20, v4
	v_addc_co_u32_e64 v5, s[2:3], v21, v5, s[2:3]
	global_load_dword v4, v[4:5], off
	s_waitcnt vmcnt(0)
	v_fmac_f32_e32 v19, v24, v4
	s_cbranch_scc1 .LBB22_16
	s_branch .LBB22_11
.LBB22_17:                              ;   in Loop: Header=BB22_9 Depth=1
	s_or_b64 exec, exec, s[20:21]
.LBB22_18:                              ;   in Loop: Header=BB22_9 Depth=1
	s_or_b64 exec, exec, s[18:19]
	v_cmp_gt_i32_e32 vcc, s22, v2
	s_and_saveexec_b64 s[2:3], vcc
	s_cbranch_execz .LBB22_8
; %bb.19:                               ;   in Loop: Header=BB22_9 Depth=1
	s_mov_b64 s[18:19], -1
	s_and_b64 vcc, exec, s[4:5]
	s_cbranch_vccz .LBB22_25
; %bb.20:                               ;   in Loop: Header=BB22_9 Depth=1
	s_and_b64 vcc, exec, s[8:9]
	s_cbranch_vccz .LBB22_22
; %bb.21:                               ;   in Loop: Header=BB22_9 Depth=1
	v_lshlrev_b64 v[4:5], 2, v[2:3]
	v_mul_f32_e32 v20, s28, v19
	v_add_co_u32_e32 v4, vcc, v14, v4
	v_addc_co_u32_e32 v5, vcc, v15, v5, vcc
	global_load_dword v0, v[4:5], off
	s_mov_b64 s[18:19], 0
	s_waitcnt vmcnt(0)
	v_fmac_f32_e32 v20, s30, v0
	global_store_dword v[4:5], v20, off
.LBB22_22:                              ;   in Loop: Header=BB22_9 Depth=1
	s_andn2_b64 vcc, exec, s[18:19]
	s_cbranch_vccnz .LBB22_24
; %bb.23:                               ;   in Loop: Header=BB22_9 Depth=1
	v_mul_lo_u32 v0, s27, v2
	v_mul_lo_u32 v20, s26, v3
	v_mad_u64_u32 v[4:5], s[18:19], s26, v2, 0
	v_add3_u32 v5, v5, v20, v0
	v_lshlrev_b64 v[4:5], 2, v[4:5]
	v_mul_f32_e32 v20, s28, v19
	v_add_co_u32_e32 v4, vcc, v12, v4
	v_addc_co_u32_e32 v5, vcc, v13, v5, vcc
	global_load_dword v0, v[4:5], off
	s_waitcnt vmcnt(0)
	v_fmac_f32_e32 v20, s30, v0
	global_store_dword v[4:5], v20, off
.LBB22_24:                              ;   in Loop: Header=BB22_9 Depth=1
	s_mov_b64 s[18:19], 0
.LBB22_25:                              ;   in Loop: Header=BB22_9 Depth=1
	s_andn2_b64 vcc, exec, s[18:19]
	s_cbranch_vccnz .LBB22_8
; %bb.26:                               ;   in Loop: Header=BB22_9 Depth=1
	v_mul_f32_e32 v0, s28, v19
	s_mov_b64 s[18:19], -1
	s_and_b64 vcc, exec, s[8:9]
	s_cbranch_vccz .LBB22_28
; %bb.27:                               ;   in Loop: Header=BB22_9 Depth=1
	v_lshlrev_b64 v[4:5], 2, v[2:3]
	s_mov_b64 s[18:19], 0
	v_add_co_u32_e32 v4, vcc, v14, v4
	v_addc_co_u32_e32 v5, vcc, v15, v5, vcc
	global_store_dword v[4:5], v0, off
.LBB22_28:                              ;   in Loop: Header=BB22_9 Depth=1
	s_andn2_b64 vcc, exec, s[18:19]
	s_cbranch_vccnz .LBB22_8
; %bb.29:                               ;   in Loop: Header=BB22_9 Depth=1
	v_mul_lo_u32 v4, s27, v2
	v_mul_lo_u32 v5, s26, v3
	v_mad_u64_u32 v[2:3], s[18:19], s26, v2, 0
	v_add3_u32 v3, v3, v5, v4
	v_lshlrev_b64 v[2:3], 2, v[2:3]
	v_add_co_u32_e32 v2, vcc, v12, v2
	v_addc_co_u32_e32 v3, vcc, v13, v3, vcc
	global_store_dword v[2:3], v0, off
	s_branch .LBB22_8
.LBB22_30:
	s_endpgm
	.section	.rodata,"a",@progbits
	.p2align	6, 0x0
	.amdhsa_kernel _ZN9rocsparseL29bsrmmnt_small_blockdim_kernelILj64ELj16ELj2EiiffffEEv20rocsparse_direction_T3_S2_llNS_24const_host_device_scalarIT7_EEPKT2_PKS2_PKT4_PKT5_llS5_PT6_ll16rocsparse_order_21rocsparse_index_base_b
		.amdhsa_group_segment_fixed_size 1024
		.amdhsa_private_segment_fixed_size 0
		.amdhsa_kernarg_size 392
		.amdhsa_user_sgpr_count 6
		.amdhsa_user_sgpr_private_segment_buffer 1
		.amdhsa_user_sgpr_dispatch_ptr 0
		.amdhsa_user_sgpr_queue_ptr 0
		.amdhsa_user_sgpr_kernarg_segment_ptr 1
		.amdhsa_user_sgpr_dispatch_id 0
		.amdhsa_user_sgpr_flat_scratch_init 0
		.amdhsa_user_sgpr_private_segment_size 0
		.amdhsa_uses_dynamic_stack 0
		.amdhsa_system_sgpr_private_segment_wavefront_offset 0
		.amdhsa_system_sgpr_workgroup_id_x 1
		.amdhsa_system_sgpr_workgroup_id_y 0
		.amdhsa_system_sgpr_workgroup_id_z 0
		.amdhsa_system_sgpr_workgroup_info 0
		.amdhsa_system_vgpr_workitem_id 0
		.amdhsa_next_free_vgpr 28
		.amdhsa_next_free_sgpr 32
		.amdhsa_reserve_vcc 1
		.amdhsa_reserve_flat_scratch 0
		.amdhsa_float_round_mode_32 0
		.amdhsa_float_round_mode_16_64 0
		.amdhsa_float_denorm_mode_32 3
		.amdhsa_float_denorm_mode_16_64 3
		.amdhsa_dx10_clamp 1
		.amdhsa_ieee_mode 1
		.amdhsa_fp16_overflow 0
		.amdhsa_exception_fp_ieee_invalid_op 0
		.amdhsa_exception_fp_denorm_src 0
		.amdhsa_exception_fp_ieee_div_zero 0
		.amdhsa_exception_fp_ieee_overflow 0
		.amdhsa_exception_fp_ieee_underflow 0
		.amdhsa_exception_fp_ieee_inexact 0
		.amdhsa_exception_int_div_zero 0
	.end_amdhsa_kernel
	.section	.text._ZN9rocsparseL29bsrmmnt_small_blockdim_kernelILj64ELj16ELj2EiiffffEEv20rocsparse_direction_T3_S2_llNS_24const_host_device_scalarIT7_EEPKT2_PKS2_PKT4_PKT5_llS5_PT6_ll16rocsparse_order_21rocsparse_index_base_b,"axG",@progbits,_ZN9rocsparseL29bsrmmnt_small_blockdim_kernelILj64ELj16ELj2EiiffffEEv20rocsparse_direction_T3_S2_llNS_24const_host_device_scalarIT7_EEPKT2_PKS2_PKT4_PKT5_llS5_PT6_ll16rocsparse_order_21rocsparse_index_base_b,comdat
.Lfunc_end22:
	.size	_ZN9rocsparseL29bsrmmnt_small_blockdim_kernelILj64ELj16ELj2EiiffffEEv20rocsparse_direction_T3_S2_llNS_24const_host_device_scalarIT7_EEPKT2_PKS2_PKT4_PKT5_llS5_PT6_ll16rocsparse_order_21rocsparse_index_base_b, .Lfunc_end22-_ZN9rocsparseL29bsrmmnt_small_blockdim_kernelILj64ELj16ELj2EiiffffEEv20rocsparse_direction_T3_S2_llNS_24const_host_device_scalarIT7_EEPKT2_PKS2_PKT4_PKT5_llS5_PT6_ll16rocsparse_order_21rocsparse_index_base_b
                                        ; -- End function
	.set _ZN9rocsparseL29bsrmmnt_small_blockdim_kernelILj64ELj16ELj2EiiffffEEv20rocsparse_direction_T3_S2_llNS_24const_host_device_scalarIT7_EEPKT2_PKS2_PKT4_PKT5_llS5_PT6_ll16rocsparse_order_21rocsparse_index_base_b.num_vgpr, 28
	.set _ZN9rocsparseL29bsrmmnt_small_blockdim_kernelILj64ELj16ELj2EiiffffEEv20rocsparse_direction_T3_S2_llNS_24const_host_device_scalarIT7_EEPKT2_PKS2_PKT4_PKT5_llS5_PT6_ll16rocsparse_order_21rocsparse_index_base_b.num_agpr, 0
	.set _ZN9rocsparseL29bsrmmnt_small_blockdim_kernelILj64ELj16ELj2EiiffffEEv20rocsparse_direction_T3_S2_llNS_24const_host_device_scalarIT7_EEPKT2_PKS2_PKT4_PKT5_llS5_PT6_ll16rocsparse_order_21rocsparse_index_base_b.numbered_sgpr, 32
	.set _ZN9rocsparseL29bsrmmnt_small_blockdim_kernelILj64ELj16ELj2EiiffffEEv20rocsparse_direction_T3_S2_llNS_24const_host_device_scalarIT7_EEPKT2_PKS2_PKT4_PKT5_llS5_PT6_ll16rocsparse_order_21rocsparse_index_base_b.num_named_barrier, 0
	.set _ZN9rocsparseL29bsrmmnt_small_blockdim_kernelILj64ELj16ELj2EiiffffEEv20rocsparse_direction_T3_S2_llNS_24const_host_device_scalarIT7_EEPKT2_PKS2_PKT4_PKT5_llS5_PT6_ll16rocsparse_order_21rocsparse_index_base_b.private_seg_size, 0
	.set _ZN9rocsparseL29bsrmmnt_small_blockdim_kernelILj64ELj16ELj2EiiffffEEv20rocsparse_direction_T3_S2_llNS_24const_host_device_scalarIT7_EEPKT2_PKS2_PKT4_PKT5_llS5_PT6_ll16rocsparse_order_21rocsparse_index_base_b.uses_vcc, 1
	.set _ZN9rocsparseL29bsrmmnt_small_blockdim_kernelILj64ELj16ELj2EiiffffEEv20rocsparse_direction_T3_S2_llNS_24const_host_device_scalarIT7_EEPKT2_PKS2_PKT4_PKT5_llS5_PT6_ll16rocsparse_order_21rocsparse_index_base_b.uses_flat_scratch, 0
	.set _ZN9rocsparseL29bsrmmnt_small_blockdim_kernelILj64ELj16ELj2EiiffffEEv20rocsparse_direction_T3_S2_llNS_24const_host_device_scalarIT7_EEPKT2_PKS2_PKT4_PKT5_llS5_PT6_ll16rocsparse_order_21rocsparse_index_base_b.has_dyn_sized_stack, 0
	.set _ZN9rocsparseL29bsrmmnt_small_blockdim_kernelILj64ELj16ELj2EiiffffEEv20rocsparse_direction_T3_S2_llNS_24const_host_device_scalarIT7_EEPKT2_PKS2_PKT4_PKT5_llS5_PT6_ll16rocsparse_order_21rocsparse_index_base_b.has_recursion, 0
	.set _ZN9rocsparseL29bsrmmnt_small_blockdim_kernelILj64ELj16ELj2EiiffffEEv20rocsparse_direction_T3_S2_llNS_24const_host_device_scalarIT7_EEPKT2_PKS2_PKT4_PKT5_llS5_PT6_ll16rocsparse_order_21rocsparse_index_base_b.has_indirect_call, 0
	.section	.AMDGPU.csdata,"",@progbits
; Kernel info:
; codeLenInByte = 1392
; TotalNumSgprs: 36
; NumVgprs: 28
; ScratchSize: 0
; MemoryBound: 0
; FloatMode: 240
; IeeeMode: 1
; LDSByteSize: 1024 bytes/workgroup (compile time only)
; SGPRBlocks: 4
; VGPRBlocks: 6
; NumSGPRsForWavesPerEU: 36
; NumVGPRsForWavesPerEU: 28
; Occupancy: 9
; WaveLimiterHint : 0
; COMPUTE_PGM_RSRC2:SCRATCH_EN: 0
; COMPUTE_PGM_RSRC2:USER_SGPR: 6
; COMPUTE_PGM_RSRC2:TRAP_HANDLER: 0
; COMPUTE_PGM_RSRC2:TGID_X_EN: 1
; COMPUTE_PGM_RSRC2:TGID_Y_EN: 0
; COMPUTE_PGM_RSRC2:TGID_Z_EN: 0
; COMPUTE_PGM_RSRC2:TIDIG_COMP_CNT: 0
	.section	.text._ZN9rocsparseL29bsrmmnt_small_blockdim_kernelILj64ELj32ELj2EiiffffEEv20rocsparse_direction_T3_S2_llNS_24const_host_device_scalarIT7_EEPKT2_PKS2_PKT4_PKT5_llS5_PT6_ll16rocsparse_order_21rocsparse_index_base_b,"axG",@progbits,_ZN9rocsparseL29bsrmmnt_small_blockdim_kernelILj64ELj32ELj2EiiffffEEv20rocsparse_direction_T3_S2_llNS_24const_host_device_scalarIT7_EEPKT2_PKS2_PKT4_PKT5_llS5_PT6_ll16rocsparse_order_21rocsparse_index_base_b,comdat
	.globl	_ZN9rocsparseL29bsrmmnt_small_blockdim_kernelILj64ELj32ELj2EiiffffEEv20rocsparse_direction_T3_S2_llNS_24const_host_device_scalarIT7_EEPKT2_PKS2_PKT4_PKT5_llS5_PT6_ll16rocsparse_order_21rocsparse_index_base_b ; -- Begin function _ZN9rocsparseL29bsrmmnt_small_blockdim_kernelILj64ELj32ELj2EiiffffEEv20rocsparse_direction_T3_S2_llNS_24const_host_device_scalarIT7_EEPKT2_PKS2_PKT4_PKT5_llS5_PT6_ll16rocsparse_order_21rocsparse_index_base_b
	.p2align	8
	.type	_ZN9rocsparseL29bsrmmnt_small_blockdim_kernelILj64ELj32ELj2EiiffffEEv20rocsparse_direction_T3_S2_llNS_24const_host_device_scalarIT7_EEPKT2_PKS2_PKT4_PKT5_llS5_PT6_ll16rocsparse_order_21rocsparse_index_base_b,@function
_ZN9rocsparseL29bsrmmnt_small_blockdim_kernelILj64ELj32ELj2EiiffffEEv20rocsparse_direction_T3_S2_llNS_24const_host_device_scalarIT7_EEPKT2_PKS2_PKT4_PKT5_llS5_PT6_ll16rocsparse_order_21rocsparse_index_base_b: ; @_ZN9rocsparseL29bsrmmnt_small_blockdim_kernelILj64ELj32ELj2EiiffffEEv20rocsparse_direction_T3_S2_llNS_24const_host_device_scalarIT7_EEPKT2_PKS2_PKT4_PKT5_llS5_PT6_ll16rocsparse_order_21rocsparse_index_base_b
; %bb.0:
	s_load_dwordx4 s[16:19], s[4:5], 0x78
	s_load_dwordx2 s[28:29], s[4:5], 0x20
	s_load_dwordx2 s[30:31], s[4:5], 0x58
	s_waitcnt lgkmcnt(0)
	s_bitcmp1_b32 s18, 0
	s_cselect_b64 s[2:3], -1, 0
	s_xor_b64 s[0:1], s[2:3], -1
	s_and_b64 vcc, exec, s[2:3]
	s_cbranch_vccnz .LBB23_2
; %bb.1:
	s_load_dword s28, s[28:29], 0x0
.LBB23_2:
	s_andn2_b64 vcc, exec, s[0:1]
	s_cbranch_vccnz .LBB23_4
; %bb.3:
	s_load_dword s30, s[30:31], 0x0
.LBB23_4:
	s_waitcnt lgkmcnt(0)
	v_cmp_eq_f32_e64 s[0:1], s28, 0
	v_cmp_eq_f32_e64 s[2:3], s30, 1.0
	s_and_b64 s[0:1], s[0:1], s[2:3]
	s_and_b64 vcc, exec, s[0:1]
	s_cbranch_vccnz .LBB23_30
; %bb.5:
	s_load_dword s0, s[4:5], 0x94
	s_load_dwordx4 s[20:23], s[4:5], 0x0
	s_waitcnt lgkmcnt(0)
	s_and_b32 s0, s0, 0xffff
	s_mul_i32 s6, s6, s0
	v_add_u32_e32 v1, s6, v0
	v_lshrrev_b32_e32 v2, 6, v1
	v_cmp_gt_i32_e32 vcc, s21, v2
	s_and_saveexec_b64 s[0:1], vcc
	s_cbranch_execz .LBB23_30
; %bb.6:
	s_cmp_lt_i32 s22, 1
	s_cbranch_scc1 .LBB23_30
; %bb.7:
	s_load_dwordx8 s[8:15], s[4:5], 0x28
	v_lshlrev_b32_e32 v2, 2, v2
	v_bfe_u32 v4, v1, 5, 1
	v_and_b32_e32 v6, 31, v0
	v_lshrrev_b32_e32 v0, 5, v0
	s_waitcnt lgkmcnt(0)
	global_load_dwordx2 v[2:3], v2, s[8:9]
	s_load_dwordx4 s[24:27], s[4:5], 0x60
	s_load_dwordx2 s[6:7], s[4:5], 0x48
	v_mov_b32_e32 v5, 0x300
	s_cmp_eq_u32 s20, 0
	v_lshrrev_b32_e32 v12, 5, v1
	v_lshl_or_b32 v7, v0, 7, v5
	v_lshlrev_b32_e32 v5, 1, v4
	s_cselect_b64 vcc, -1, 0
	v_or_b32_e32 v11, 2, v4
	v_mul_u32_u24_e32 v8, 0x180, v0
	v_or_b32_e32 v0, 1, v5
	v_cndmask_b32_e32 v10, v4, v5, vcc
	s_waitcnt lgkmcnt(0)
	v_mad_u64_u32 v[4:5], s[0:1], s26, v12, 0
	v_mov_b32_e32 v1, 0
	v_cndmask_b32_e32 v11, v11, v0, vcc
	v_mov_b32_e32 v0, v5
	v_mad_u64_u32 v[14:15], s[0:1], s27, v12, v[0:1]
	v_lshlrev_b32_e32 v13, 2, v12
	v_mov_b32_e32 v17, s25
	v_mov_b32_e32 v5, v14
	v_add_co_u32_e32 v12, vcc, s24, v13
	v_lshlrev_b64 v[4:5], 2, v[4:5]
	v_addc_co_u32_e32 v13, vcc, 0, v17, vcc
	v_mul_u32_u24_e32 v18, 12, v6
	s_cmp_lg_u32 s16, 1
	v_mov_b32_e32 v16, s25
	v_add_co_u32_e32 v14, vcc, s24, v4
	s_mov_b32 s23, 0
	v_cmp_neq_f32_e64 s[4:5], s30, 0
	v_lshl_or_b32 v9, v6, 2, v7
	s_cselect_b64 s[8:9], -1, 0
	v_addc_co_u32_e32 v15, vcc, v16, v5, vcc
	v_add_u32_e32 v18, v8, v18
	s_waitcnt vmcnt(0)
	v_subrev_u32_e32 v16, s17, v2
	v_subrev_u32_e32 v17, s17, v3
	v_cmp_lt_i32_e64 s[0:1], v2, v3
	s_branch .LBB23_9
.LBB23_8:                               ;   in Loop: Header=BB23_9 Depth=1
	s_or_b64 exec, exec, s[2:3]
	s_add_i32 s23, s23, 32
	s_cmp_lt_i32 s23, s22
	s_cbranch_scc0 .LBB23_30
.LBB23_9:                               ; =>This Loop Header: Depth=1
                                        ;     Child Loop BB23_12 Depth 2
                                        ;       Child Loop BB23_16 Depth 3
	v_or_b32_e32 v2, s23, v6
	v_ashrrev_i32_e32 v3, 31, v2
	v_mov_b32_e32 v19, v1
	s_and_saveexec_b64 s[18:19], s[0:1]
	s_cbranch_execz .LBB23_18
; %bb.10:                               ;   in Loop: Header=BB23_9 Depth=1
	v_lshlrev_b64 v[4:5], 2, v[2:3]
	v_mov_b32_e32 v0, s15
	v_add_co_u32_e64 v20, s[2:3], s14, v4
	v_cmp_gt_i32_e32 vcc, s22, v2
	v_addc_co_u32_e64 v21, s[2:3], v0, v5, s[2:3]
	v_mov_b32_e32 v19, 0
	s_mov_b64 s[20:21], 0
	v_mov_b32_e32 v22, v16
	s_branch .LBB23_12
.LBB23_11:                              ;   in Loop: Header=BB23_12 Depth=2
	s_or_b64 exec, exec, s[24:25]
	v_add_u32_e32 v22, 32, v22
	v_cmp_ge_i32_e64 s[2:3], v22, v17
	s_or_b64 s[20:21], s[2:3], s[20:21]
	s_andn2_b64 exec, exec, s[20:21]
	s_cbranch_execz .LBB23_17
.LBB23_12:                              ;   Parent Loop BB23_9 Depth=1
                                        ; =>  This Loop Header: Depth=2
                                        ;       Child Loop BB23_16 Depth 3
	v_add_u32_e32 v4, v22, v6
	v_cmp_lt_i32_e64 s[2:3], v4, v17
	v_mov_b32_e32 v23, 0
	v_mov_b32_e32 v0, 0
	;; [unrolled: 1-line block ×3, first 2 shown]
	s_and_saveexec_b64 s[24:25], s[2:3]
	s_cbranch_execz .LBB23_14
; %bb.13:                               ;   in Loop: Header=BB23_12 Depth=2
	v_ashrrev_i32_e32 v5, 31, v4
	v_lshlrev_b64 v[23:24], 2, v[4:5]
	v_mov_b32_e32 v0, s11
	v_add_co_u32_e64 v23, s[2:3], s10, v23
	v_lshlrev_b32_e32 v25, 2, v4
	v_addc_co_u32_e64 v24, s[2:3], v0, v24, s[2:3]
	v_or_b32_e32 v0, v25, v10
	v_lshlrev_b64 v[4:5], 2, v[0:1]
	global_load_dword v27, v[23:24], off
	v_mov_b32_e32 v0, s13
	v_add_co_u32_e64 v23, s[2:3], s12, v4
	v_addc_co_u32_e64 v24, s[2:3], v0, v5, s[2:3]
	v_or_b32_e32 v0, v25, v11
	v_lshlrev_b64 v[4:5], 2, v[0:1]
	v_mov_b32_e32 v0, s13
	v_add_co_u32_e64 v25, s[2:3], s12, v4
	v_addc_co_u32_e64 v26, s[2:3], v0, v5, s[2:3]
	global_load_dword v0, v[23:24], off
	global_load_dword v5, v[25:26], off
	s_waitcnt vmcnt(2)
	v_subrev_u32_e32 v4, s17, v27
	v_lshlrev_b32_e32 v23, 1, v4
.LBB23_14:                              ;   in Loop: Header=BB23_12 Depth=2
	s_or_b64 exec, exec, s[24:25]
	ds_write_b32 v9, v23
	s_waitcnt vmcnt(0)
	ds_write2_b32 v18, v0, v5 offset1:1
	s_waitcnt lgkmcnt(0)
	; wave barrier
	s_and_saveexec_b64 s[24:25], vcc
	s_cbranch_execz .LBB23_11
; %bb.15:                               ;   in Loop: Header=BB23_12 Depth=2
	s_mov_b32 s16, 0
	v_mov_b32_e32 v0, v8
.LBB23_16:                              ;   Parent Loop BB23_9 Depth=1
                                        ;     Parent Loop BB23_12 Depth=2
                                        ; =>    This Inner Loop Header: Depth=3
	v_add_u32_e32 v4, s16, v7
	ds_read_b64 v[4:5], v4
	s_add_i32 s16, s16, 8
	s_cmpk_lg_i32 s16, 0x80
	s_waitcnt lgkmcnt(0)
	v_ashrrev_i32_e32 v23, 31, v4
	v_mul_lo_u32 v25, s6, v23
	v_mul_lo_u32 v26, s7, v4
	v_mad_u64_u32 v[23:24], s[2:3], s6, v4, 0
	v_add_u32_e32 v4, 1, v4
	v_mul_lo_u32 v27, s7, v4
	v_add3_u32 v24, v24, v25, v26
	v_lshlrev_b64 v[23:24], 2, v[23:24]
	v_add_co_u32_e64 v23, s[2:3], v20, v23
	v_addc_co_u32_e64 v24, s[2:3], v21, v24, s[2:3]
	global_load_dword v25, v[23:24], off
	ds_read_b64 v[23:24], v0
	s_waitcnt vmcnt(0) lgkmcnt(0)
	v_fmac_f32_e32 v19, v23, v25
	v_ashrrev_i32_e32 v23, 31, v4
	v_mul_lo_u32 v23, s6, v23
	v_mad_u64_u32 v[25:26], s[2:3], s6, v4, 0
	v_add3_u32 v26, v26, v23, v27
	v_lshlrev_b64 v[25:26], 2, v[25:26]
	v_add_co_u32_e64 v25, s[2:3], v20, v25
	v_addc_co_u32_e64 v26, s[2:3], v21, v26, s[2:3]
	global_load_dword v4, v[25:26], off
	v_mul_lo_u32 v25, s7, v5
	s_waitcnt vmcnt(0)
	v_fmac_f32_e32 v19, v24, v4
	v_ashrrev_i32_e32 v4, 31, v5
	v_mul_lo_u32 v4, s6, v4
	v_mad_u64_u32 v[23:24], s[2:3], s6, v5, 0
	v_add3_u32 v24, v24, v4, v25
	v_lshlrev_b64 v[23:24], 2, v[23:24]
	v_add_co_u32_e64 v23, s[2:3], v20, v23
	v_addc_co_u32_e64 v24, s[2:3], v21, v24, s[2:3]
	global_load_dword v4, v[23:24], off
	ds_read2_b32 v[23:24], v0 offset0:3 offset1:4
	v_add_u32_e32 v0, 24, v0
	s_waitcnt vmcnt(0) lgkmcnt(0)
	v_fmac_f32_e32 v19, v23, v4
	v_add_u32_e32 v4, 1, v5
	v_ashrrev_i32_e32 v5, 31, v4
	v_mul_lo_u32 v23, s6, v5
	v_mul_lo_u32 v25, s7, v4
	v_mad_u64_u32 v[4:5], s[2:3], s6, v4, 0
	v_add3_u32 v5, v5, v23, v25
	v_lshlrev_b64 v[4:5], 2, v[4:5]
	v_add_co_u32_e64 v4, s[2:3], v20, v4
	v_addc_co_u32_e64 v5, s[2:3], v21, v5, s[2:3]
	global_load_dword v4, v[4:5], off
	s_waitcnt vmcnt(0)
	v_fmac_f32_e32 v19, v24, v4
	s_cbranch_scc1 .LBB23_16
	s_branch .LBB23_11
.LBB23_17:                              ;   in Loop: Header=BB23_9 Depth=1
	s_or_b64 exec, exec, s[20:21]
.LBB23_18:                              ;   in Loop: Header=BB23_9 Depth=1
	s_or_b64 exec, exec, s[18:19]
	v_cmp_gt_i32_e32 vcc, s22, v2
	s_and_saveexec_b64 s[2:3], vcc
	s_cbranch_execz .LBB23_8
; %bb.19:                               ;   in Loop: Header=BB23_9 Depth=1
	s_mov_b64 s[18:19], -1
	s_and_b64 vcc, exec, s[4:5]
	s_cbranch_vccz .LBB23_25
; %bb.20:                               ;   in Loop: Header=BB23_9 Depth=1
	s_and_b64 vcc, exec, s[8:9]
	s_cbranch_vccz .LBB23_22
; %bb.21:                               ;   in Loop: Header=BB23_9 Depth=1
	v_lshlrev_b64 v[4:5], 2, v[2:3]
	v_mul_f32_e32 v20, s28, v19
	v_add_co_u32_e32 v4, vcc, v14, v4
	v_addc_co_u32_e32 v5, vcc, v15, v5, vcc
	global_load_dword v0, v[4:5], off
	s_mov_b64 s[18:19], 0
	s_waitcnt vmcnt(0)
	v_fmac_f32_e32 v20, s30, v0
	global_store_dword v[4:5], v20, off
.LBB23_22:                              ;   in Loop: Header=BB23_9 Depth=1
	s_andn2_b64 vcc, exec, s[18:19]
	s_cbranch_vccnz .LBB23_24
; %bb.23:                               ;   in Loop: Header=BB23_9 Depth=1
	v_mul_lo_u32 v0, s27, v2
	v_mul_lo_u32 v20, s26, v3
	v_mad_u64_u32 v[4:5], s[18:19], s26, v2, 0
	v_add3_u32 v5, v5, v20, v0
	v_lshlrev_b64 v[4:5], 2, v[4:5]
	v_mul_f32_e32 v20, s28, v19
	v_add_co_u32_e32 v4, vcc, v12, v4
	v_addc_co_u32_e32 v5, vcc, v13, v5, vcc
	global_load_dword v0, v[4:5], off
	s_waitcnt vmcnt(0)
	v_fmac_f32_e32 v20, s30, v0
	global_store_dword v[4:5], v20, off
.LBB23_24:                              ;   in Loop: Header=BB23_9 Depth=1
	s_mov_b64 s[18:19], 0
.LBB23_25:                              ;   in Loop: Header=BB23_9 Depth=1
	s_andn2_b64 vcc, exec, s[18:19]
	s_cbranch_vccnz .LBB23_8
; %bb.26:                               ;   in Loop: Header=BB23_9 Depth=1
	v_mul_f32_e32 v0, s28, v19
	s_mov_b64 s[18:19], -1
	s_and_b64 vcc, exec, s[8:9]
	s_cbranch_vccz .LBB23_28
; %bb.27:                               ;   in Loop: Header=BB23_9 Depth=1
	v_lshlrev_b64 v[4:5], 2, v[2:3]
	s_mov_b64 s[18:19], 0
	v_add_co_u32_e32 v4, vcc, v14, v4
	v_addc_co_u32_e32 v5, vcc, v15, v5, vcc
	global_store_dword v[4:5], v0, off
.LBB23_28:                              ;   in Loop: Header=BB23_9 Depth=1
	s_andn2_b64 vcc, exec, s[18:19]
	s_cbranch_vccnz .LBB23_8
; %bb.29:                               ;   in Loop: Header=BB23_9 Depth=1
	v_mul_lo_u32 v4, s27, v2
	v_mul_lo_u32 v5, s26, v3
	v_mad_u64_u32 v[2:3], s[18:19], s26, v2, 0
	v_add3_u32 v3, v3, v5, v4
	v_lshlrev_b64 v[2:3], 2, v[2:3]
	v_add_co_u32_e32 v2, vcc, v12, v2
	v_addc_co_u32_e32 v3, vcc, v13, v3, vcc
	global_store_dword v[2:3], v0, off
	s_branch .LBB23_8
.LBB23_30:
	s_endpgm
	.section	.rodata,"a",@progbits
	.p2align	6, 0x0
	.amdhsa_kernel _ZN9rocsparseL29bsrmmnt_small_blockdim_kernelILj64ELj32ELj2EiiffffEEv20rocsparse_direction_T3_S2_llNS_24const_host_device_scalarIT7_EEPKT2_PKS2_PKT4_PKT5_llS5_PT6_ll16rocsparse_order_21rocsparse_index_base_b
		.amdhsa_group_segment_fixed_size 1024
		.amdhsa_private_segment_fixed_size 0
		.amdhsa_kernarg_size 392
		.amdhsa_user_sgpr_count 6
		.amdhsa_user_sgpr_private_segment_buffer 1
		.amdhsa_user_sgpr_dispatch_ptr 0
		.amdhsa_user_sgpr_queue_ptr 0
		.amdhsa_user_sgpr_kernarg_segment_ptr 1
		.amdhsa_user_sgpr_dispatch_id 0
		.amdhsa_user_sgpr_flat_scratch_init 0
		.amdhsa_user_sgpr_private_segment_size 0
		.amdhsa_uses_dynamic_stack 0
		.amdhsa_system_sgpr_private_segment_wavefront_offset 0
		.amdhsa_system_sgpr_workgroup_id_x 1
		.amdhsa_system_sgpr_workgroup_id_y 0
		.amdhsa_system_sgpr_workgroup_id_z 0
		.amdhsa_system_sgpr_workgroup_info 0
		.amdhsa_system_vgpr_workitem_id 0
		.amdhsa_next_free_vgpr 28
		.amdhsa_next_free_sgpr 32
		.amdhsa_reserve_vcc 1
		.amdhsa_reserve_flat_scratch 0
		.amdhsa_float_round_mode_32 0
		.amdhsa_float_round_mode_16_64 0
		.amdhsa_float_denorm_mode_32 3
		.amdhsa_float_denorm_mode_16_64 3
		.amdhsa_dx10_clamp 1
		.amdhsa_ieee_mode 1
		.amdhsa_fp16_overflow 0
		.amdhsa_exception_fp_ieee_invalid_op 0
		.amdhsa_exception_fp_denorm_src 0
		.amdhsa_exception_fp_ieee_div_zero 0
		.amdhsa_exception_fp_ieee_overflow 0
		.amdhsa_exception_fp_ieee_underflow 0
		.amdhsa_exception_fp_ieee_inexact 0
		.amdhsa_exception_int_div_zero 0
	.end_amdhsa_kernel
	.section	.text._ZN9rocsparseL29bsrmmnt_small_blockdim_kernelILj64ELj32ELj2EiiffffEEv20rocsparse_direction_T3_S2_llNS_24const_host_device_scalarIT7_EEPKT2_PKS2_PKT4_PKT5_llS5_PT6_ll16rocsparse_order_21rocsparse_index_base_b,"axG",@progbits,_ZN9rocsparseL29bsrmmnt_small_blockdim_kernelILj64ELj32ELj2EiiffffEEv20rocsparse_direction_T3_S2_llNS_24const_host_device_scalarIT7_EEPKT2_PKS2_PKT4_PKT5_llS5_PT6_ll16rocsparse_order_21rocsparse_index_base_b,comdat
.Lfunc_end23:
	.size	_ZN9rocsparseL29bsrmmnt_small_blockdim_kernelILj64ELj32ELj2EiiffffEEv20rocsparse_direction_T3_S2_llNS_24const_host_device_scalarIT7_EEPKT2_PKS2_PKT4_PKT5_llS5_PT6_ll16rocsparse_order_21rocsparse_index_base_b, .Lfunc_end23-_ZN9rocsparseL29bsrmmnt_small_blockdim_kernelILj64ELj32ELj2EiiffffEEv20rocsparse_direction_T3_S2_llNS_24const_host_device_scalarIT7_EEPKT2_PKS2_PKT4_PKT5_llS5_PT6_ll16rocsparse_order_21rocsparse_index_base_b
                                        ; -- End function
	.set _ZN9rocsparseL29bsrmmnt_small_blockdim_kernelILj64ELj32ELj2EiiffffEEv20rocsparse_direction_T3_S2_llNS_24const_host_device_scalarIT7_EEPKT2_PKS2_PKT4_PKT5_llS5_PT6_ll16rocsparse_order_21rocsparse_index_base_b.num_vgpr, 28
	.set _ZN9rocsparseL29bsrmmnt_small_blockdim_kernelILj64ELj32ELj2EiiffffEEv20rocsparse_direction_T3_S2_llNS_24const_host_device_scalarIT7_EEPKT2_PKS2_PKT4_PKT5_llS5_PT6_ll16rocsparse_order_21rocsparse_index_base_b.num_agpr, 0
	.set _ZN9rocsparseL29bsrmmnt_small_blockdim_kernelILj64ELj32ELj2EiiffffEEv20rocsparse_direction_T3_S2_llNS_24const_host_device_scalarIT7_EEPKT2_PKS2_PKT4_PKT5_llS5_PT6_ll16rocsparse_order_21rocsparse_index_base_b.numbered_sgpr, 32
	.set _ZN9rocsparseL29bsrmmnt_small_blockdim_kernelILj64ELj32ELj2EiiffffEEv20rocsparse_direction_T3_S2_llNS_24const_host_device_scalarIT7_EEPKT2_PKS2_PKT4_PKT5_llS5_PT6_ll16rocsparse_order_21rocsparse_index_base_b.num_named_barrier, 0
	.set _ZN9rocsparseL29bsrmmnt_small_blockdim_kernelILj64ELj32ELj2EiiffffEEv20rocsparse_direction_T3_S2_llNS_24const_host_device_scalarIT7_EEPKT2_PKS2_PKT4_PKT5_llS5_PT6_ll16rocsparse_order_21rocsparse_index_base_b.private_seg_size, 0
	.set _ZN9rocsparseL29bsrmmnt_small_blockdim_kernelILj64ELj32ELj2EiiffffEEv20rocsparse_direction_T3_S2_llNS_24const_host_device_scalarIT7_EEPKT2_PKS2_PKT4_PKT5_llS5_PT6_ll16rocsparse_order_21rocsparse_index_base_b.uses_vcc, 1
	.set _ZN9rocsparseL29bsrmmnt_small_blockdim_kernelILj64ELj32ELj2EiiffffEEv20rocsparse_direction_T3_S2_llNS_24const_host_device_scalarIT7_EEPKT2_PKS2_PKT4_PKT5_llS5_PT6_ll16rocsparse_order_21rocsparse_index_base_b.uses_flat_scratch, 0
	.set _ZN9rocsparseL29bsrmmnt_small_blockdim_kernelILj64ELj32ELj2EiiffffEEv20rocsparse_direction_T3_S2_llNS_24const_host_device_scalarIT7_EEPKT2_PKS2_PKT4_PKT5_llS5_PT6_ll16rocsparse_order_21rocsparse_index_base_b.has_dyn_sized_stack, 0
	.set _ZN9rocsparseL29bsrmmnt_small_blockdim_kernelILj64ELj32ELj2EiiffffEEv20rocsparse_direction_T3_S2_llNS_24const_host_device_scalarIT7_EEPKT2_PKS2_PKT4_PKT5_llS5_PT6_ll16rocsparse_order_21rocsparse_index_base_b.has_recursion, 0
	.set _ZN9rocsparseL29bsrmmnt_small_blockdim_kernelILj64ELj32ELj2EiiffffEEv20rocsparse_direction_T3_S2_llNS_24const_host_device_scalarIT7_EEPKT2_PKS2_PKT4_PKT5_llS5_PT6_ll16rocsparse_order_21rocsparse_index_base_b.has_indirect_call, 0
	.section	.AMDGPU.csdata,"",@progbits
; Kernel info:
; codeLenInByte = 1392
; TotalNumSgprs: 36
; NumVgprs: 28
; ScratchSize: 0
; MemoryBound: 0
; FloatMode: 240
; IeeeMode: 1
; LDSByteSize: 1024 bytes/workgroup (compile time only)
; SGPRBlocks: 4
; VGPRBlocks: 6
; NumSGPRsForWavesPerEU: 36
; NumVGPRsForWavesPerEU: 28
; Occupancy: 9
; WaveLimiterHint : 0
; COMPUTE_PGM_RSRC2:SCRATCH_EN: 0
; COMPUTE_PGM_RSRC2:USER_SGPR: 6
; COMPUTE_PGM_RSRC2:TRAP_HANDLER: 0
; COMPUTE_PGM_RSRC2:TGID_X_EN: 1
; COMPUTE_PGM_RSRC2:TGID_Y_EN: 0
; COMPUTE_PGM_RSRC2:TGID_Z_EN: 0
; COMPUTE_PGM_RSRC2:TIDIG_COMP_CNT: 0
	.section	.text._ZN9rocsparseL29bsrmmnt_small_blockdim_kernelILj64ELj64ELj2EiiffffEEv20rocsparse_direction_T3_S2_llNS_24const_host_device_scalarIT7_EEPKT2_PKS2_PKT4_PKT5_llS5_PT6_ll16rocsparse_order_21rocsparse_index_base_b,"axG",@progbits,_ZN9rocsparseL29bsrmmnt_small_blockdim_kernelILj64ELj64ELj2EiiffffEEv20rocsparse_direction_T3_S2_llNS_24const_host_device_scalarIT7_EEPKT2_PKS2_PKT4_PKT5_llS5_PT6_ll16rocsparse_order_21rocsparse_index_base_b,comdat
	.globl	_ZN9rocsparseL29bsrmmnt_small_blockdim_kernelILj64ELj64ELj2EiiffffEEv20rocsparse_direction_T3_S2_llNS_24const_host_device_scalarIT7_EEPKT2_PKS2_PKT4_PKT5_llS5_PT6_ll16rocsparse_order_21rocsparse_index_base_b ; -- Begin function _ZN9rocsparseL29bsrmmnt_small_blockdim_kernelILj64ELj64ELj2EiiffffEEv20rocsparse_direction_T3_S2_llNS_24const_host_device_scalarIT7_EEPKT2_PKS2_PKT4_PKT5_llS5_PT6_ll16rocsparse_order_21rocsparse_index_base_b
	.p2align	8
	.type	_ZN9rocsparseL29bsrmmnt_small_blockdim_kernelILj64ELj64ELj2EiiffffEEv20rocsparse_direction_T3_S2_llNS_24const_host_device_scalarIT7_EEPKT2_PKS2_PKT4_PKT5_llS5_PT6_ll16rocsparse_order_21rocsparse_index_base_b,@function
_ZN9rocsparseL29bsrmmnt_small_blockdim_kernelILj64ELj64ELj2EiiffffEEv20rocsparse_direction_T3_S2_llNS_24const_host_device_scalarIT7_EEPKT2_PKS2_PKT4_PKT5_llS5_PT6_ll16rocsparse_order_21rocsparse_index_base_b: ; @_ZN9rocsparseL29bsrmmnt_small_blockdim_kernelILj64ELj64ELj2EiiffffEEv20rocsparse_direction_T3_S2_llNS_24const_host_device_scalarIT7_EEPKT2_PKS2_PKT4_PKT5_llS5_PT6_ll16rocsparse_order_21rocsparse_index_base_b
; %bb.0:
	s_load_dwordx4 s[16:19], s[4:5], 0x78
	s_load_dwordx2 s[28:29], s[4:5], 0x20
	s_load_dwordx2 s[30:31], s[4:5], 0x58
	s_waitcnt lgkmcnt(0)
	s_bitcmp1_b32 s18, 0
	s_cselect_b64 s[2:3], -1, 0
	s_xor_b64 s[0:1], s[2:3], -1
	s_and_b64 vcc, exec, s[2:3]
	s_cbranch_vccnz .LBB24_2
; %bb.1:
	s_load_dword s28, s[28:29], 0x0
.LBB24_2:
	s_andn2_b64 vcc, exec, s[0:1]
	s_cbranch_vccnz .LBB24_4
; %bb.3:
	s_load_dword s30, s[30:31], 0x0
.LBB24_4:
	s_waitcnt lgkmcnt(0)
	v_cmp_eq_f32_e64 s[0:1], s28, 0
	v_cmp_eq_f32_e64 s[2:3], s30, 1.0
	s_and_b64 s[0:1], s[0:1], s[2:3]
	s_and_b64 vcc, exec, s[0:1]
	s_cbranch_vccnz .LBB24_30
; %bb.5:
	s_load_dword s0, s[4:5], 0x94
	s_load_dwordx4 s[20:23], s[4:5], 0x0
	s_waitcnt lgkmcnt(0)
	s_and_b32 s0, s0, 0xffff
	s_mul_i32 s6, s6, s0
	v_add_u32_e32 v1, s6, v0
	v_lshrrev_b32_e32 v2, 7, v1
	v_cmp_gt_i32_e32 vcc, s21, v2
	s_and_saveexec_b64 s[0:1], vcc
	s_cbranch_execz .LBB24_30
; %bb.6:
	s_cmp_lt_i32 s22, 1
	s_cbranch_scc1 .LBB24_30
; %bb.7:
	s_load_dwordx8 s[8:15], s[4:5], 0x28
	v_lshlrev_b32_e32 v2, 2, v2
	v_lshrrev_b32_e32 v11, 6, v1
	v_bfe_u32 v1, v1, 6, 1
	s_cmp_eq_u32 s20, 0
	s_waitcnt lgkmcnt(0)
	global_load_dwordx2 v[3:4], v2, s[8:9]
	s_load_dwordx4 s[24:27], s[4:5], 0x60
	s_load_dwordx2 s[6:7], s[4:5], 0x48
	v_lshlrev_b32_e32 v10, 1, v1
	s_cselect_b64 vcc, -1, 0
	v_mov_b32_e32 v2, 0
	s_waitcnt lgkmcnt(0)
	v_mad_u64_u32 v[5:6], s[0:1], s26, v11, 0
	v_or_b32_e32 v17, 2, v1
	v_or_b32_e32 v18, 1, v10
	v_cndmask_b32_e32 v10, v1, v10, vcc
	v_mov_b32_e32 v1, v6
	v_mad_u64_u32 v[13:14], s[0:1], s27, v11, v[1:2]
	v_lshlrev_b32_e32 v12, 2, v11
	v_mov_b32_e32 v16, s25
	v_mov_b32_e32 v6, v13
	v_add_co_u32_e64 v11, s[0:1], s24, v12
	v_lshlrev_b64 v[5:6], 2, v[5:6]
	v_addc_co_u32_e64 v12, s[0:1], 0, v16, s[0:1]
	v_mov_b32_e32 v15, s25
	v_add_co_u32_e64 v13, s[0:1], s24, v5
	v_mov_b32_e32 v7, 0x300
	s_cmp_lg_u32 s16, 1
	v_addc_co_u32_e64 v14, s[0:1], v15, v6, s[0:1]
	s_mov_b32 s23, 0
	v_mul_u32_u24_e32 v8, 12, v0
	v_cmp_neq_f32_e64 s[4:5], s30, 0
	v_lshl_or_b32 v9, v0, 2, v7
	s_cselect_b64 s[8:9], -1, 0
	v_cndmask_b32_e32 v17, v17, v18, vcc
	s_waitcnt vmcnt(0)
	v_subrev_u32_e32 v15, s17, v3
	v_subrev_u32_e32 v16, s17, v4
	v_cmp_lt_i32_e64 s[0:1], v3, v4
	s_branch .LBB24_9
.LBB24_8:                               ;   in Loop: Header=BB24_9 Depth=1
	s_or_b64 exec, exec, s[2:3]
	s_add_i32 s23, s23, 64
	s_cmp_lt_i32 s23, s22
	s_cbranch_scc0 .LBB24_30
.LBB24_9:                               ; =>This Loop Header: Depth=1
                                        ;     Child Loop BB24_12 Depth 2
                                        ;       Child Loop BB24_16 Depth 3
	v_or_b32_e32 v3, s23, v0
	v_ashrrev_i32_e32 v4, 31, v3
	v_mov_b32_e32 v18, v2
	s_and_saveexec_b64 s[18:19], s[0:1]
	s_cbranch_execz .LBB24_18
; %bb.10:                               ;   in Loop: Header=BB24_9 Depth=1
	v_lshlrev_b64 v[5:6], 2, v[3:4]
	v_mov_b32_e32 v1, s15
	v_add_co_u32_e64 v19, s[2:3], s14, v5
	v_cmp_gt_i32_e32 vcc, s22, v3
	v_addc_co_u32_e64 v20, s[2:3], v1, v6, s[2:3]
	v_mov_b32_e32 v18, 0
	s_mov_b64 s[20:21], 0
	v_mov_b32_e32 v21, v15
	s_branch .LBB24_12
.LBB24_11:                              ;   in Loop: Header=BB24_12 Depth=2
	s_or_b64 exec, exec, s[24:25]
	v_add_u32_e32 v21, 64, v21
	v_cmp_ge_i32_e64 s[2:3], v21, v16
	s_or_b64 s[20:21], s[2:3], s[20:21]
	s_andn2_b64 exec, exec, s[20:21]
	s_cbranch_execz .LBB24_17
.LBB24_12:                              ;   Parent Loop BB24_9 Depth=1
                                        ; =>  This Loop Header: Depth=2
                                        ;       Child Loop BB24_16 Depth 3
	v_add_u32_e32 v5, v21, v0
	v_cmp_lt_i32_e64 s[2:3], v5, v16
	v_mov_b32_e32 v22, 0
	v_mov_b32_e32 v1, 0
	;; [unrolled: 1-line block ×3, first 2 shown]
	s_and_saveexec_b64 s[24:25], s[2:3]
	s_cbranch_execz .LBB24_14
; %bb.13:                               ;   in Loop: Header=BB24_12 Depth=2
	v_ashrrev_i32_e32 v6, 31, v5
	v_lshlrev_b64 v[22:23], 2, v[5:6]
	v_mov_b32_e32 v1, s11
	v_add_co_u32_e64 v22, s[2:3], s10, v22
	v_lshlrev_b32_e32 v24, 2, v5
	v_addc_co_u32_e64 v23, s[2:3], v1, v23, s[2:3]
	v_or_b32_e32 v1, v24, v10
	v_lshlrev_b64 v[5:6], 2, v[1:2]
	global_load_dword v26, v[22:23], off
	v_mov_b32_e32 v1, s13
	v_add_co_u32_e64 v22, s[2:3], s12, v5
	v_addc_co_u32_e64 v23, s[2:3], v1, v6, s[2:3]
	v_or_b32_e32 v1, v24, v17
	v_lshlrev_b64 v[5:6], 2, v[1:2]
	v_mov_b32_e32 v1, s13
	v_add_co_u32_e64 v24, s[2:3], s12, v5
	v_addc_co_u32_e64 v25, s[2:3], v1, v6, s[2:3]
	global_load_dword v1, v[22:23], off
	global_load_dword v6, v[24:25], off
	s_waitcnt vmcnt(2)
	v_subrev_u32_e32 v5, s17, v26
	v_lshlrev_b32_e32 v22, 1, v5
.LBB24_14:                              ;   in Loop: Header=BB24_12 Depth=2
	s_or_b64 exec, exec, s[24:25]
	ds_write_b32 v9, v22
	s_waitcnt vmcnt(0)
	ds_write2_b32 v8, v1, v6 offset1:1
	s_waitcnt lgkmcnt(0)
	; wave barrier
	s_and_saveexec_b64 s[24:25], vcc
	s_cbranch_execz .LBB24_11
; %bb.15:                               ;   in Loop: Header=BB24_12 Depth=2
	s_mov_b32 s16, 0
	v_mov_b32_e32 v1, 0
.LBB24_16:                              ;   Parent Loop BB24_9 Depth=1
                                        ;     Parent Loop BB24_12 Depth=2
                                        ; =>    This Inner Loop Header: Depth=3
	v_add_u32_e32 v5, s16, v7
	ds_read_b64 v[5:6], v5
	s_add_i32 s16, s16, 8
	s_cmpk_lg_i32 s16, 0x100
	s_waitcnt lgkmcnt(0)
	v_ashrrev_i32_e32 v22, 31, v5
	v_mul_lo_u32 v24, s6, v22
	v_mul_lo_u32 v25, s7, v5
	v_mad_u64_u32 v[22:23], s[2:3], s6, v5, 0
	v_add_u32_e32 v5, 1, v5
	v_mul_lo_u32 v26, s7, v5
	v_add3_u32 v23, v23, v24, v25
	v_lshlrev_b64 v[22:23], 2, v[22:23]
	v_add_co_u32_e64 v22, s[2:3], v19, v22
	v_addc_co_u32_e64 v23, s[2:3], v20, v23, s[2:3]
	global_load_dword v24, v[22:23], off
	ds_read_b64 v[22:23], v1
	s_waitcnt vmcnt(0) lgkmcnt(0)
	v_fmac_f32_e32 v18, v22, v24
	v_ashrrev_i32_e32 v22, 31, v5
	v_mul_lo_u32 v22, s6, v22
	v_mad_u64_u32 v[24:25], s[2:3], s6, v5, 0
	v_add3_u32 v25, v25, v22, v26
	v_lshlrev_b64 v[24:25], 2, v[24:25]
	v_add_co_u32_e64 v24, s[2:3], v19, v24
	v_addc_co_u32_e64 v25, s[2:3], v20, v25, s[2:3]
	global_load_dword v5, v[24:25], off
	v_mul_lo_u32 v24, s7, v6
	s_waitcnt vmcnt(0)
	v_fmac_f32_e32 v18, v23, v5
	v_ashrrev_i32_e32 v5, 31, v6
	v_mul_lo_u32 v5, s6, v5
	v_mad_u64_u32 v[22:23], s[2:3], s6, v6, 0
	v_add3_u32 v23, v23, v5, v24
	v_lshlrev_b64 v[22:23], 2, v[22:23]
	v_add_co_u32_e64 v22, s[2:3], v19, v22
	v_addc_co_u32_e64 v23, s[2:3], v20, v23, s[2:3]
	global_load_dword v5, v[22:23], off
	ds_read2_b32 v[22:23], v1 offset0:3 offset1:4
	v_add_u32_e32 v1, 24, v1
	s_waitcnt vmcnt(0) lgkmcnt(0)
	v_fmac_f32_e32 v18, v22, v5
	v_add_u32_e32 v5, 1, v6
	v_ashrrev_i32_e32 v6, 31, v5
	v_mul_lo_u32 v22, s6, v6
	v_mul_lo_u32 v24, s7, v5
	v_mad_u64_u32 v[5:6], s[2:3], s6, v5, 0
	v_add3_u32 v6, v6, v22, v24
	v_lshlrev_b64 v[5:6], 2, v[5:6]
	v_add_co_u32_e64 v5, s[2:3], v19, v5
	v_addc_co_u32_e64 v6, s[2:3], v20, v6, s[2:3]
	global_load_dword v5, v[5:6], off
	s_waitcnt vmcnt(0)
	v_fmac_f32_e32 v18, v23, v5
	s_cbranch_scc1 .LBB24_16
	s_branch .LBB24_11
.LBB24_17:                              ;   in Loop: Header=BB24_9 Depth=1
	s_or_b64 exec, exec, s[20:21]
.LBB24_18:                              ;   in Loop: Header=BB24_9 Depth=1
	s_or_b64 exec, exec, s[18:19]
	v_cmp_gt_i32_e32 vcc, s22, v3
	s_and_saveexec_b64 s[2:3], vcc
	s_cbranch_execz .LBB24_8
; %bb.19:                               ;   in Loop: Header=BB24_9 Depth=1
	s_mov_b64 s[18:19], -1
	s_and_b64 vcc, exec, s[4:5]
	s_cbranch_vccz .LBB24_25
; %bb.20:                               ;   in Loop: Header=BB24_9 Depth=1
	s_and_b64 vcc, exec, s[8:9]
	s_cbranch_vccz .LBB24_22
; %bb.21:                               ;   in Loop: Header=BB24_9 Depth=1
	v_lshlrev_b64 v[5:6], 2, v[3:4]
	v_mul_f32_e32 v19, s28, v18
	v_add_co_u32_e32 v5, vcc, v13, v5
	v_addc_co_u32_e32 v6, vcc, v14, v6, vcc
	global_load_dword v1, v[5:6], off
	s_mov_b64 s[18:19], 0
	s_waitcnt vmcnt(0)
	v_fmac_f32_e32 v19, s30, v1
	global_store_dword v[5:6], v19, off
.LBB24_22:                              ;   in Loop: Header=BB24_9 Depth=1
	s_andn2_b64 vcc, exec, s[18:19]
	s_cbranch_vccnz .LBB24_24
; %bb.23:                               ;   in Loop: Header=BB24_9 Depth=1
	v_mul_lo_u32 v1, s27, v3
	v_mul_lo_u32 v19, s26, v4
	v_mad_u64_u32 v[5:6], s[18:19], s26, v3, 0
	v_add3_u32 v6, v6, v19, v1
	v_lshlrev_b64 v[5:6], 2, v[5:6]
	v_mul_f32_e32 v19, s28, v18
	v_add_co_u32_e32 v5, vcc, v11, v5
	v_addc_co_u32_e32 v6, vcc, v12, v6, vcc
	global_load_dword v1, v[5:6], off
	s_waitcnt vmcnt(0)
	v_fmac_f32_e32 v19, s30, v1
	global_store_dword v[5:6], v19, off
.LBB24_24:                              ;   in Loop: Header=BB24_9 Depth=1
	s_mov_b64 s[18:19], 0
.LBB24_25:                              ;   in Loop: Header=BB24_9 Depth=1
	s_andn2_b64 vcc, exec, s[18:19]
	s_cbranch_vccnz .LBB24_8
; %bb.26:                               ;   in Loop: Header=BB24_9 Depth=1
	v_mul_f32_e32 v1, s28, v18
	s_mov_b64 s[18:19], -1
	s_and_b64 vcc, exec, s[8:9]
	s_cbranch_vccz .LBB24_28
; %bb.27:                               ;   in Loop: Header=BB24_9 Depth=1
	v_lshlrev_b64 v[5:6], 2, v[3:4]
	s_mov_b64 s[18:19], 0
	v_add_co_u32_e32 v5, vcc, v13, v5
	v_addc_co_u32_e32 v6, vcc, v14, v6, vcc
	global_store_dword v[5:6], v1, off
.LBB24_28:                              ;   in Loop: Header=BB24_9 Depth=1
	s_andn2_b64 vcc, exec, s[18:19]
	s_cbranch_vccnz .LBB24_8
; %bb.29:                               ;   in Loop: Header=BB24_9 Depth=1
	v_mul_lo_u32 v5, s27, v3
	v_mul_lo_u32 v6, s26, v4
	v_mad_u64_u32 v[3:4], s[18:19], s26, v3, 0
	v_add3_u32 v4, v4, v6, v5
	v_lshlrev_b64 v[3:4], 2, v[3:4]
	v_add_co_u32_e32 v3, vcc, v11, v3
	v_addc_co_u32_e32 v4, vcc, v12, v4, vcc
	global_store_dword v[3:4], v1, off
	s_branch .LBB24_8
.LBB24_30:
	s_endpgm
	.section	.rodata,"a",@progbits
	.p2align	6, 0x0
	.amdhsa_kernel _ZN9rocsparseL29bsrmmnt_small_blockdim_kernelILj64ELj64ELj2EiiffffEEv20rocsparse_direction_T3_S2_llNS_24const_host_device_scalarIT7_EEPKT2_PKS2_PKT4_PKT5_llS5_PT6_ll16rocsparse_order_21rocsparse_index_base_b
		.amdhsa_group_segment_fixed_size 1024
		.amdhsa_private_segment_fixed_size 0
		.amdhsa_kernarg_size 392
		.amdhsa_user_sgpr_count 6
		.amdhsa_user_sgpr_private_segment_buffer 1
		.amdhsa_user_sgpr_dispatch_ptr 0
		.amdhsa_user_sgpr_queue_ptr 0
		.amdhsa_user_sgpr_kernarg_segment_ptr 1
		.amdhsa_user_sgpr_dispatch_id 0
		.amdhsa_user_sgpr_flat_scratch_init 0
		.amdhsa_user_sgpr_private_segment_size 0
		.amdhsa_uses_dynamic_stack 0
		.amdhsa_system_sgpr_private_segment_wavefront_offset 0
		.amdhsa_system_sgpr_workgroup_id_x 1
		.amdhsa_system_sgpr_workgroup_id_y 0
		.amdhsa_system_sgpr_workgroup_id_z 0
		.amdhsa_system_sgpr_workgroup_info 0
		.amdhsa_system_vgpr_workitem_id 0
		.amdhsa_next_free_vgpr 27
		.amdhsa_next_free_sgpr 32
		.amdhsa_reserve_vcc 1
		.amdhsa_reserve_flat_scratch 0
		.amdhsa_float_round_mode_32 0
		.amdhsa_float_round_mode_16_64 0
		.amdhsa_float_denorm_mode_32 3
		.amdhsa_float_denorm_mode_16_64 3
		.amdhsa_dx10_clamp 1
		.amdhsa_ieee_mode 1
		.amdhsa_fp16_overflow 0
		.amdhsa_exception_fp_ieee_invalid_op 0
		.amdhsa_exception_fp_denorm_src 0
		.amdhsa_exception_fp_ieee_div_zero 0
		.amdhsa_exception_fp_ieee_overflow 0
		.amdhsa_exception_fp_ieee_underflow 0
		.amdhsa_exception_fp_ieee_inexact 0
		.amdhsa_exception_int_div_zero 0
	.end_amdhsa_kernel
	.section	.text._ZN9rocsparseL29bsrmmnt_small_blockdim_kernelILj64ELj64ELj2EiiffffEEv20rocsparse_direction_T3_S2_llNS_24const_host_device_scalarIT7_EEPKT2_PKS2_PKT4_PKT5_llS5_PT6_ll16rocsparse_order_21rocsparse_index_base_b,"axG",@progbits,_ZN9rocsparseL29bsrmmnt_small_blockdim_kernelILj64ELj64ELj2EiiffffEEv20rocsparse_direction_T3_S2_llNS_24const_host_device_scalarIT7_EEPKT2_PKS2_PKT4_PKT5_llS5_PT6_ll16rocsparse_order_21rocsparse_index_base_b,comdat
.Lfunc_end24:
	.size	_ZN9rocsparseL29bsrmmnt_small_blockdim_kernelILj64ELj64ELj2EiiffffEEv20rocsparse_direction_T3_S2_llNS_24const_host_device_scalarIT7_EEPKT2_PKS2_PKT4_PKT5_llS5_PT6_ll16rocsparse_order_21rocsparse_index_base_b, .Lfunc_end24-_ZN9rocsparseL29bsrmmnt_small_blockdim_kernelILj64ELj64ELj2EiiffffEEv20rocsparse_direction_T3_S2_llNS_24const_host_device_scalarIT7_EEPKT2_PKS2_PKT4_PKT5_llS5_PT6_ll16rocsparse_order_21rocsparse_index_base_b
                                        ; -- End function
	.set _ZN9rocsparseL29bsrmmnt_small_blockdim_kernelILj64ELj64ELj2EiiffffEEv20rocsparse_direction_T3_S2_llNS_24const_host_device_scalarIT7_EEPKT2_PKS2_PKT4_PKT5_llS5_PT6_ll16rocsparse_order_21rocsparse_index_base_b.num_vgpr, 27
	.set _ZN9rocsparseL29bsrmmnt_small_blockdim_kernelILj64ELj64ELj2EiiffffEEv20rocsparse_direction_T3_S2_llNS_24const_host_device_scalarIT7_EEPKT2_PKS2_PKT4_PKT5_llS5_PT6_ll16rocsparse_order_21rocsparse_index_base_b.num_agpr, 0
	.set _ZN9rocsparseL29bsrmmnt_small_blockdim_kernelILj64ELj64ELj2EiiffffEEv20rocsparse_direction_T3_S2_llNS_24const_host_device_scalarIT7_EEPKT2_PKS2_PKT4_PKT5_llS5_PT6_ll16rocsparse_order_21rocsparse_index_base_b.numbered_sgpr, 32
	.set _ZN9rocsparseL29bsrmmnt_small_blockdim_kernelILj64ELj64ELj2EiiffffEEv20rocsparse_direction_T3_S2_llNS_24const_host_device_scalarIT7_EEPKT2_PKS2_PKT4_PKT5_llS5_PT6_ll16rocsparse_order_21rocsparse_index_base_b.num_named_barrier, 0
	.set _ZN9rocsparseL29bsrmmnt_small_blockdim_kernelILj64ELj64ELj2EiiffffEEv20rocsparse_direction_T3_S2_llNS_24const_host_device_scalarIT7_EEPKT2_PKS2_PKT4_PKT5_llS5_PT6_ll16rocsparse_order_21rocsparse_index_base_b.private_seg_size, 0
	.set _ZN9rocsparseL29bsrmmnt_small_blockdim_kernelILj64ELj64ELj2EiiffffEEv20rocsparse_direction_T3_S2_llNS_24const_host_device_scalarIT7_EEPKT2_PKS2_PKT4_PKT5_llS5_PT6_ll16rocsparse_order_21rocsparse_index_base_b.uses_vcc, 1
	.set _ZN9rocsparseL29bsrmmnt_small_blockdim_kernelILj64ELj64ELj2EiiffffEEv20rocsparse_direction_T3_S2_llNS_24const_host_device_scalarIT7_EEPKT2_PKS2_PKT4_PKT5_llS5_PT6_ll16rocsparse_order_21rocsparse_index_base_b.uses_flat_scratch, 0
	.set _ZN9rocsparseL29bsrmmnt_small_blockdim_kernelILj64ELj64ELj2EiiffffEEv20rocsparse_direction_T3_S2_llNS_24const_host_device_scalarIT7_EEPKT2_PKS2_PKT4_PKT5_llS5_PT6_ll16rocsparse_order_21rocsparse_index_base_b.has_dyn_sized_stack, 0
	.set _ZN9rocsparseL29bsrmmnt_small_blockdim_kernelILj64ELj64ELj2EiiffffEEv20rocsparse_direction_T3_S2_llNS_24const_host_device_scalarIT7_EEPKT2_PKS2_PKT4_PKT5_llS5_PT6_ll16rocsparse_order_21rocsparse_index_base_b.has_recursion, 0
	.set _ZN9rocsparseL29bsrmmnt_small_blockdim_kernelILj64ELj64ELj2EiiffffEEv20rocsparse_direction_T3_S2_llNS_24const_host_device_scalarIT7_EEPKT2_PKS2_PKT4_PKT5_llS5_PT6_ll16rocsparse_order_21rocsparse_index_base_b.has_indirect_call, 0
	.section	.AMDGPU.csdata,"",@progbits
; Kernel info:
; codeLenInByte = 1380
; TotalNumSgprs: 36
; NumVgprs: 27
; ScratchSize: 0
; MemoryBound: 0
; FloatMode: 240
; IeeeMode: 1
; LDSByteSize: 1024 bytes/workgroup (compile time only)
; SGPRBlocks: 4
; VGPRBlocks: 6
; NumSGPRsForWavesPerEU: 36
; NumVGPRsForWavesPerEU: 27
; Occupancy: 9
; WaveLimiterHint : 0
; COMPUTE_PGM_RSRC2:SCRATCH_EN: 0
; COMPUTE_PGM_RSRC2:USER_SGPR: 6
; COMPUTE_PGM_RSRC2:TRAP_HANDLER: 0
; COMPUTE_PGM_RSRC2:TGID_X_EN: 1
; COMPUTE_PGM_RSRC2:TGID_Y_EN: 0
; COMPUTE_PGM_RSRC2:TGID_Z_EN: 0
; COMPUTE_PGM_RSRC2:TIDIG_COMP_CNT: 0
	.section	.text._ZN9rocsparseL29bsrmmnt_small_blockdim_kernelILj64ELj8ELj2EliffffEEv20rocsparse_direction_T3_S2_llNS_24const_host_device_scalarIT7_EEPKT2_PKS2_PKT4_PKT5_llS5_PT6_ll16rocsparse_order_21rocsparse_index_base_b,"axG",@progbits,_ZN9rocsparseL29bsrmmnt_small_blockdim_kernelILj64ELj8ELj2EliffffEEv20rocsparse_direction_T3_S2_llNS_24const_host_device_scalarIT7_EEPKT2_PKS2_PKT4_PKT5_llS5_PT6_ll16rocsparse_order_21rocsparse_index_base_b,comdat
	.globl	_ZN9rocsparseL29bsrmmnt_small_blockdim_kernelILj64ELj8ELj2EliffffEEv20rocsparse_direction_T3_S2_llNS_24const_host_device_scalarIT7_EEPKT2_PKS2_PKT4_PKT5_llS5_PT6_ll16rocsparse_order_21rocsparse_index_base_b ; -- Begin function _ZN9rocsparseL29bsrmmnt_small_blockdim_kernelILj64ELj8ELj2EliffffEEv20rocsparse_direction_T3_S2_llNS_24const_host_device_scalarIT7_EEPKT2_PKS2_PKT4_PKT5_llS5_PT6_ll16rocsparse_order_21rocsparse_index_base_b
	.p2align	8
	.type	_ZN9rocsparseL29bsrmmnt_small_blockdim_kernelILj64ELj8ELj2EliffffEEv20rocsparse_direction_T3_S2_llNS_24const_host_device_scalarIT7_EEPKT2_PKS2_PKT4_PKT5_llS5_PT6_ll16rocsparse_order_21rocsparse_index_base_b,@function
_ZN9rocsparseL29bsrmmnt_small_blockdim_kernelILj64ELj8ELj2EliffffEEv20rocsparse_direction_T3_S2_llNS_24const_host_device_scalarIT7_EEPKT2_PKS2_PKT4_PKT5_llS5_PT6_ll16rocsparse_order_21rocsparse_index_base_b: ; @_ZN9rocsparseL29bsrmmnt_small_blockdim_kernelILj64ELj8ELj2EliffffEEv20rocsparse_direction_T3_S2_llNS_24const_host_device_scalarIT7_EEPKT2_PKS2_PKT4_PKT5_llS5_PT6_ll16rocsparse_order_21rocsparse_index_base_b
; %bb.0:
	s_load_dwordx4 s[16:19], s[4:5], 0x78
	s_load_dwordx2 s[28:29], s[4:5], 0x20
	s_load_dwordx2 s[30:31], s[4:5], 0x58
	s_waitcnt lgkmcnt(0)
	s_bitcmp1_b32 s18, 0
	s_cselect_b64 s[2:3], -1, 0
	s_xor_b64 s[0:1], s[2:3], -1
	s_and_b64 vcc, exec, s[2:3]
	s_cbranch_vccnz .LBB25_2
; %bb.1:
	s_load_dword s28, s[28:29], 0x0
.LBB25_2:
	s_andn2_b64 vcc, exec, s[0:1]
	s_cbranch_vccnz .LBB25_4
; %bb.3:
	s_load_dword s30, s[30:31], 0x0
.LBB25_4:
	s_waitcnt lgkmcnt(0)
	v_cmp_eq_f32_e64 s[0:1], s28, 0
	v_cmp_eq_f32_e64 s[2:3], s30, 1.0
	s_and_b64 s[0:1], s[0:1], s[2:3]
	s_and_b64 vcc, exec, s[0:1]
	s_cbranch_vccnz .LBB25_30
; %bb.5:
	s_load_dword s0, s[4:5], 0x94
	s_load_dwordx4 s[20:23], s[4:5], 0x0
	s_waitcnt lgkmcnt(0)
	s_and_b32 s0, s0, 0xffff
	s_mul_i32 s6, s6, s0
	v_add_u32_e32 v1, s6, v0
	v_lshrrev_b32_e32 v2, 4, v1
	v_cmp_gt_i32_e32 vcc, s21, v2
	s_and_saveexec_b64 s[0:1], vcc
	s_cbranch_execz .LBB25_30
; %bb.6:
	s_cmp_lt_i32 s22, 1
	s_cbranch_scc1 .LBB25_30
; %bb.7:
	s_load_dwordx8 s[8:15], s[4:5], 0x28
	v_lshlrev_b32_e32 v2, 3, v2
	s_cmp_lg_u32 s16, 1
	v_and_b32_e32 v10, 7, v0
	v_lshrrev_b32_e32 v0, 3, v0
	s_waitcnt lgkmcnt(0)
	global_load_dwordx4 v[4:7], v2, s[8:9]
	s_load_dwordx4 s[24:27], s[4:5], 0x60
	s_load_dwordx2 s[6:7], s[4:5], 0x48
	s_cselect_b64 s[8:9], -1, 0
	s_cmp_eq_u32 s20, 0
	v_mov_b32_e32 v3, 0x300
	s_cselect_b64 s[0:1], -1, 0
	v_lshrrev_b32_e32 v2, 3, v1
	v_bfe_u32 v1, v1, 3, 1
	v_lshl_or_b32 v11, v0, 5, v3
	v_mul_u32_u24_e32 v12, 0x60, v0
	v_cndmask_b32_e64 v0, 0, 1, s[0:1]
	v_lshlrev_b32_e32 v0, v0, v1
	s_and_b64 s[0:1], s[0:1], exec
	v_lshlrev_b32_e32 v9, 2, v0
	s_waitcnt lgkmcnt(0)
	v_mad_u64_u32 v[0:1], s[0:1], s26, v2, 0
	v_lshlrev_b32_e32 v3, 2, v2
	v_mov_b32_e32 v15, s25
	v_mad_u64_u32 v[1:2], s[0:1], s27, v2, v[1:2]
	v_add_co_u32_e32 v14, vcc, s24, v3
	v_addc_co_u32_e32 v15, vcc, 0, v15, vcc
	v_mov_b32_e32 v17, s13
	v_add_co_u32_e32 v16, vcc, s12, v9
	v_lshlrev_b64 v[0:1], 2, v[0:1]
	v_addc_co_u32_e32 v17, vcc, 0, v17, vcc
	v_mov_b32_e32 v19, s25
	v_add_co_u32_e32 v18, vcc, s24, v0
	v_addc_co_u32_e32 v19, vcc, v19, v1, vcc
	v_mul_u32_u24_e32 v8, 12, v10
	s_mov_b32 s23, 0
	v_cmp_neq_f32_e64 s[4:5], s30, 0
	v_lshl_or_b32 v13, v10, 2, v11
	s_cselect_b32 s16, 4, 8
	v_add_u32_e32 v20, v12, v8
	s_waitcnt vmcnt(0)
	v_subrev_co_u32_e32 v0, vcc, s17, v4
	v_subbrev_co_u32_e32 v1, vcc, 0, v5, vcc
	v_subrev_co_u32_e32 v2, vcc, s17, v6
	v_cmp_lt_i64_e64 s[0:1], v[4:5], v[6:7]
	v_subbrev_co_u32_e32 v3, vcc, 0, v7, vcc
	s_branch .LBB25_9
.LBB25_8:                               ;   in Loop: Header=BB25_9 Depth=1
	s_or_b64 exec, exec, s[2:3]
	s_add_i32 s23, s23, 8
	s_cmp_lt_i32 s23, s22
	s_cbranch_scc0 .LBB25_30
.LBB25_9:                               ; =>This Loop Header: Depth=1
                                        ;     Child Loop BB25_12 Depth 2
                                        ;       Child Loop BB25_16 Depth 3
	v_or_b32_e32 v4, s23, v10
	v_ashrrev_i32_e32 v5, 31, v4
	v_mov_b32_e32 v21, 0
	s_and_saveexec_b64 s[12:13], s[0:1]
	s_cbranch_execz .LBB25_18
; %bb.10:                               ;   in Loop: Header=BB25_9 Depth=1
	v_lshlrev_b64 v[6:7], 2, v[4:5]
	v_mov_b32_e32 v8, s15
	v_add_co_u32_e64 v22, s[2:3], s14, v6
	v_addc_co_u32_e64 v23, s[2:3], v8, v7, s[2:3]
	v_mov_b32_e32 v7, v1
	v_cmp_gt_i32_e32 vcc, s22, v4
	v_mov_b32_e32 v21, 0
	s_mov_b64 s[18:19], 0
	v_mov_b32_e32 v6, v0
	s_branch .LBB25_12
.LBB25_11:                              ;   in Loop: Header=BB25_12 Depth=2
	s_or_b64 exec, exec, s[20:21]
	v_add_co_u32_e64 v6, s[2:3], 8, v6
	v_addc_co_u32_e64 v7, s[2:3], 0, v7, s[2:3]
	v_cmp_ge_i64_e64 s[2:3], v[6:7], v[2:3]
	s_or_b64 s[18:19], s[2:3], s[18:19]
	s_andn2_b64 exec, exec, s[18:19]
	s_cbranch_execz .LBB25_17
.LBB25_12:                              ;   Parent Loop BB25_9 Depth=1
                                        ; =>  This Loop Header: Depth=2
                                        ;       Child Loop BB25_16 Depth 3
	v_add_co_u32_e64 v8, s[2:3], v6, v10
	v_addc_co_u32_e64 v9, s[2:3], 0, v7, s[2:3]
	v_cmp_lt_i64_e64 s[2:3], v[8:9], v[2:3]
	v_mov_b32_e32 v26, 0
	v_mov_b32_e32 v24, 0
	;; [unrolled: 1-line block ×3, first 2 shown]
	s_and_saveexec_b64 s[20:21], s[2:3]
	s_cbranch_execz .LBB25_14
; %bb.13:                               ;   in Loop: Header=BB25_12 Depth=2
	v_lshlrev_b64 v[24:25], 2, v[8:9]
	v_mov_b32_e32 v26, s11
	v_add_co_u32_e64 v24, s[2:3], s10, v24
	v_lshlrev_b64 v[8:9], 4, v[8:9]
	v_addc_co_u32_e64 v25, s[2:3], v26, v25, s[2:3]
	v_add_co_u32_e64 v8, s[2:3], v16, v8
	global_load_dword v28, v[24:25], off
	v_addc_co_u32_e64 v9, s[2:3], v17, v9, s[2:3]
	v_add_co_u32_e64 v26, s[2:3], s16, v8
	v_addc_co_u32_e64 v27, s[2:3], 0, v9, s[2:3]
	global_load_dword v24, v[8:9], off
	global_load_dword v25, v[26:27], off
	s_waitcnt vmcnt(2)
	v_subrev_u32_e32 v8, s17, v28
	v_lshlrev_b32_e32 v26, 1, v8
.LBB25_14:                              ;   in Loop: Header=BB25_12 Depth=2
	s_or_b64 exec, exec, s[20:21]
	ds_write_b32 v13, v26
	s_waitcnt vmcnt(0)
	ds_write2_b32 v20, v24, v25 offset1:1
	s_waitcnt lgkmcnt(0)
	; wave barrier
	s_and_saveexec_b64 s[20:21], vcc
	s_cbranch_execz .LBB25_11
; %bb.15:                               ;   in Loop: Header=BB25_12 Depth=2
	s_mov_b32 s24, 0
	v_mov_b32_e32 v8, v12
.LBB25_16:                              ;   Parent Loop BB25_9 Depth=1
                                        ;     Parent Loop BB25_12 Depth=2
                                        ; =>    This Inner Loop Header: Depth=3
	v_add_u32_e32 v9, s24, v11
	ds_read_b64 v[24:25], v9
	s_add_i32 s24, s24, 8
	s_cmp_lg_u32 s24, 32
	s_waitcnt lgkmcnt(0)
	v_ashrrev_i32_e32 v9, 31, v24
	v_mul_lo_u32 v9, s6, v9
	v_mul_lo_u32 v28, s7, v24
	v_mad_u64_u32 v[26:27], s[2:3], s6, v24, 0
	v_add3_u32 v27, v27, v9, v28
	v_lshlrev_b64 v[26:27], 2, v[26:27]
	v_add_co_u32_e64 v26, s[2:3], v22, v26
	v_addc_co_u32_e64 v27, s[2:3], v23, v27, s[2:3]
	global_load_dword v9, v[26:27], off
	ds_read_b64 v[26:27], v8
	s_waitcnt vmcnt(0) lgkmcnt(0)
	v_fmac_f32_e32 v21, v26, v9
	v_add_u32_e32 v9, 1, v24
	v_ashrrev_i32_e32 v24, 31, v9
	v_mul_lo_u32 v24, s6, v24
	v_mul_lo_u32 v26, s7, v9
	v_mad_u64_u32 v[28:29], s[2:3], s6, v9, 0
	v_add3_u32 v29, v29, v24, v26
	v_lshlrev_b64 v[28:29], 2, v[28:29]
	v_mul_lo_u32 v24, s7, v25
	v_add_co_u32_e64 v28, s[2:3], v22, v28
	v_addc_co_u32_e64 v29, s[2:3], v23, v29, s[2:3]
	global_load_dword v9, v[28:29], off
	s_waitcnt vmcnt(0)
	v_fmac_f32_e32 v21, v27, v9
	v_ashrrev_i32_e32 v9, 31, v25
	v_mul_lo_u32 v9, s6, v9
	v_mad_u64_u32 v[26:27], s[2:3], s6, v25, 0
	v_add3_u32 v27, v27, v9, v24
	v_lshlrev_b64 v[26:27], 2, v[26:27]
	v_add_co_u32_e64 v26, s[2:3], v22, v26
	v_addc_co_u32_e64 v27, s[2:3], v23, v27, s[2:3]
	global_load_dword v9, v[26:27], off
	ds_read2_b32 v[26:27], v8 offset0:3 offset1:4
	v_add_u32_e32 v8, 24, v8
	s_waitcnt vmcnt(0) lgkmcnt(0)
	v_fmac_f32_e32 v21, v26, v9
	v_add_u32_e32 v9, 1, v25
	v_ashrrev_i32_e32 v24, 31, v9
	v_mul_lo_u32 v26, s6, v24
	v_mul_lo_u32 v28, s7, v9
	v_mad_u64_u32 v[24:25], s[2:3], s6, v9, 0
	v_add3_u32 v25, v25, v26, v28
	v_lshlrev_b64 v[24:25], 2, v[24:25]
	v_add_co_u32_e64 v24, s[2:3], v22, v24
	v_addc_co_u32_e64 v25, s[2:3], v23, v25, s[2:3]
	global_load_dword v9, v[24:25], off
	s_waitcnt vmcnt(0)
	v_fmac_f32_e32 v21, v27, v9
	s_cbranch_scc1 .LBB25_16
	s_branch .LBB25_11
.LBB25_17:                              ;   in Loop: Header=BB25_9 Depth=1
	s_or_b64 exec, exec, s[18:19]
.LBB25_18:                              ;   in Loop: Header=BB25_9 Depth=1
	s_or_b64 exec, exec, s[12:13]
	v_cmp_gt_i32_e32 vcc, s22, v4
	s_and_saveexec_b64 s[2:3], vcc
	s_cbranch_execz .LBB25_8
; %bb.19:                               ;   in Loop: Header=BB25_9 Depth=1
	s_mov_b64 s[12:13], -1
	s_and_b64 vcc, exec, s[4:5]
	s_cbranch_vccz .LBB25_25
; %bb.20:                               ;   in Loop: Header=BB25_9 Depth=1
	s_and_b64 vcc, exec, s[8:9]
	s_cbranch_vccz .LBB25_22
; %bb.21:                               ;   in Loop: Header=BB25_9 Depth=1
	v_lshlrev_b64 v[6:7], 2, v[4:5]
	v_mul_f32_e32 v9, s28, v21
	v_add_co_u32_e32 v6, vcc, v18, v6
	v_addc_co_u32_e32 v7, vcc, v19, v7, vcc
	global_load_dword v8, v[6:7], off
	s_mov_b64 s[12:13], 0
	s_waitcnt vmcnt(0)
	v_fmac_f32_e32 v9, s30, v8
	global_store_dword v[6:7], v9, off
.LBB25_22:                              ;   in Loop: Header=BB25_9 Depth=1
	s_andn2_b64 vcc, exec, s[12:13]
	s_cbranch_vccnz .LBB25_24
; %bb.23:                               ;   in Loop: Header=BB25_9 Depth=1
	v_mul_lo_u32 v8, s27, v4
	v_mul_lo_u32 v9, s26, v5
	v_mad_u64_u32 v[6:7], s[12:13], s26, v4, 0
	v_add3_u32 v7, v7, v9, v8
	v_lshlrev_b64 v[6:7], 2, v[6:7]
	v_mul_f32_e32 v9, s28, v21
	v_add_co_u32_e32 v6, vcc, v14, v6
	v_addc_co_u32_e32 v7, vcc, v15, v7, vcc
	global_load_dword v8, v[6:7], off
	s_waitcnt vmcnt(0)
	v_fmac_f32_e32 v9, s30, v8
	global_store_dword v[6:7], v9, off
.LBB25_24:                              ;   in Loop: Header=BB25_9 Depth=1
	s_mov_b64 s[12:13], 0
.LBB25_25:                              ;   in Loop: Header=BB25_9 Depth=1
	s_andn2_b64 vcc, exec, s[12:13]
	s_cbranch_vccnz .LBB25_8
; %bb.26:                               ;   in Loop: Header=BB25_9 Depth=1
	v_mul_f32_e32 v6, s28, v21
	s_mov_b64 s[12:13], -1
	s_and_b64 vcc, exec, s[8:9]
	s_cbranch_vccz .LBB25_28
; %bb.27:                               ;   in Loop: Header=BB25_9 Depth=1
	v_lshlrev_b64 v[7:8], 2, v[4:5]
	s_mov_b64 s[12:13], 0
	v_add_co_u32_e32 v7, vcc, v18, v7
	v_addc_co_u32_e32 v8, vcc, v19, v8, vcc
	global_store_dword v[7:8], v6, off
.LBB25_28:                              ;   in Loop: Header=BB25_9 Depth=1
	s_andn2_b64 vcc, exec, s[12:13]
	s_cbranch_vccnz .LBB25_8
; %bb.29:                               ;   in Loop: Header=BB25_9 Depth=1
	v_mul_lo_u32 v7, s27, v4
	v_mul_lo_u32 v8, s26, v5
	v_mad_u64_u32 v[4:5], s[12:13], s26, v4, 0
	v_add3_u32 v5, v5, v8, v7
	v_lshlrev_b64 v[4:5], 2, v[4:5]
	v_add_co_u32_e32 v4, vcc, v14, v4
	v_addc_co_u32_e32 v5, vcc, v15, v5, vcc
	global_store_dword v[4:5], v6, off
	s_branch .LBB25_8
.LBB25_30:
	s_endpgm
	.section	.rodata,"a",@progbits
	.p2align	6, 0x0
	.amdhsa_kernel _ZN9rocsparseL29bsrmmnt_small_blockdim_kernelILj64ELj8ELj2EliffffEEv20rocsparse_direction_T3_S2_llNS_24const_host_device_scalarIT7_EEPKT2_PKS2_PKT4_PKT5_llS5_PT6_ll16rocsparse_order_21rocsparse_index_base_b
		.amdhsa_group_segment_fixed_size 1024
		.amdhsa_private_segment_fixed_size 0
		.amdhsa_kernarg_size 392
		.amdhsa_user_sgpr_count 6
		.amdhsa_user_sgpr_private_segment_buffer 1
		.amdhsa_user_sgpr_dispatch_ptr 0
		.amdhsa_user_sgpr_queue_ptr 0
		.amdhsa_user_sgpr_kernarg_segment_ptr 1
		.amdhsa_user_sgpr_dispatch_id 0
		.amdhsa_user_sgpr_flat_scratch_init 0
		.amdhsa_user_sgpr_private_segment_size 0
		.amdhsa_uses_dynamic_stack 0
		.amdhsa_system_sgpr_private_segment_wavefront_offset 0
		.amdhsa_system_sgpr_workgroup_id_x 1
		.amdhsa_system_sgpr_workgroup_id_y 0
		.amdhsa_system_sgpr_workgroup_id_z 0
		.amdhsa_system_sgpr_workgroup_info 0
		.amdhsa_system_vgpr_workitem_id 0
		.amdhsa_next_free_vgpr 30
		.amdhsa_next_free_sgpr 32
		.amdhsa_reserve_vcc 1
		.amdhsa_reserve_flat_scratch 0
		.amdhsa_float_round_mode_32 0
		.amdhsa_float_round_mode_16_64 0
		.amdhsa_float_denorm_mode_32 3
		.amdhsa_float_denorm_mode_16_64 3
		.amdhsa_dx10_clamp 1
		.amdhsa_ieee_mode 1
		.amdhsa_fp16_overflow 0
		.amdhsa_exception_fp_ieee_invalid_op 0
		.amdhsa_exception_fp_denorm_src 0
		.amdhsa_exception_fp_ieee_div_zero 0
		.amdhsa_exception_fp_ieee_overflow 0
		.amdhsa_exception_fp_ieee_underflow 0
		.amdhsa_exception_fp_ieee_inexact 0
		.amdhsa_exception_int_div_zero 0
	.end_amdhsa_kernel
	.section	.text._ZN9rocsparseL29bsrmmnt_small_blockdim_kernelILj64ELj8ELj2EliffffEEv20rocsparse_direction_T3_S2_llNS_24const_host_device_scalarIT7_EEPKT2_PKS2_PKT4_PKT5_llS5_PT6_ll16rocsparse_order_21rocsparse_index_base_b,"axG",@progbits,_ZN9rocsparseL29bsrmmnt_small_blockdim_kernelILj64ELj8ELj2EliffffEEv20rocsparse_direction_T3_S2_llNS_24const_host_device_scalarIT7_EEPKT2_PKS2_PKT4_PKT5_llS5_PT6_ll16rocsparse_order_21rocsparse_index_base_b,comdat
.Lfunc_end25:
	.size	_ZN9rocsparseL29bsrmmnt_small_blockdim_kernelILj64ELj8ELj2EliffffEEv20rocsparse_direction_T3_S2_llNS_24const_host_device_scalarIT7_EEPKT2_PKS2_PKT4_PKT5_llS5_PT6_ll16rocsparse_order_21rocsparse_index_base_b, .Lfunc_end25-_ZN9rocsparseL29bsrmmnt_small_blockdim_kernelILj64ELj8ELj2EliffffEEv20rocsparse_direction_T3_S2_llNS_24const_host_device_scalarIT7_EEPKT2_PKS2_PKT4_PKT5_llS5_PT6_ll16rocsparse_order_21rocsparse_index_base_b
                                        ; -- End function
	.set _ZN9rocsparseL29bsrmmnt_small_blockdim_kernelILj64ELj8ELj2EliffffEEv20rocsparse_direction_T3_S2_llNS_24const_host_device_scalarIT7_EEPKT2_PKS2_PKT4_PKT5_llS5_PT6_ll16rocsparse_order_21rocsparse_index_base_b.num_vgpr, 30
	.set _ZN9rocsparseL29bsrmmnt_small_blockdim_kernelILj64ELj8ELj2EliffffEEv20rocsparse_direction_T3_S2_llNS_24const_host_device_scalarIT7_EEPKT2_PKS2_PKT4_PKT5_llS5_PT6_ll16rocsparse_order_21rocsparse_index_base_b.num_agpr, 0
	.set _ZN9rocsparseL29bsrmmnt_small_blockdim_kernelILj64ELj8ELj2EliffffEEv20rocsparse_direction_T3_S2_llNS_24const_host_device_scalarIT7_EEPKT2_PKS2_PKT4_PKT5_llS5_PT6_ll16rocsparse_order_21rocsparse_index_base_b.numbered_sgpr, 32
	.set _ZN9rocsparseL29bsrmmnt_small_blockdim_kernelILj64ELj8ELj2EliffffEEv20rocsparse_direction_T3_S2_llNS_24const_host_device_scalarIT7_EEPKT2_PKS2_PKT4_PKT5_llS5_PT6_ll16rocsparse_order_21rocsparse_index_base_b.num_named_barrier, 0
	.set _ZN9rocsparseL29bsrmmnt_small_blockdim_kernelILj64ELj8ELj2EliffffEEv20rocsparse_direction_T3_S2_llNS_24const_host_device_scalarIT7_EEPKT2_PKS2_PKT4_PKT5_llS5_PT6_ll16rocsparse_order_21rocsparse_index_base_b.private_seg_size, 0
	.set _ZN9rocsparseL29bsrmmnt_small_blockdim_kernelILj64ELj8ELj2EliffffEEv20rocsparse_direction_T3_S2_llNS_24const_host_device_scalarIT7_EEPKT2_PKS2_PKT4_PKT5_llS5_PT6_ll16rocsparse_order_21rocsparse_index_base_b.uses_vcc, 1
	.set _ZN9rocsparseL29bsrmmnt_small_blockdim_kernelILj64ELj8ELj2EliffffEEv20rocsparse_direction_T3_S2_llNS_24const_host_device_scalarIT7_EEPKT2_PKS2_PKT4_PKT5_llS5_PT6_ll16rocsparse_order_21rocsparse_index_base_b.uses_flat_scratch, 0
	.set _ZN9rocsparseL29bsrmmnt_small_blockdim_kernelILj64ELj8ELj2EliffffEEv20rocsparse_direction_T3_S2_llNS_24const_host_device_scalarIT7_EEPKT2_PKS2_PKT4_PKT5_llS5_PT6_ll16rocsparse_order_21rocsparse_index_base_b.has_dyn_sized_stack, 0
	.set _ZN9rocsparseL29bsrmmnt_small_blockdim_kernelILj64ELj8ELj2EliffffEEv20rocsparse_direction_T3_S2_llNS_24const_host_device_scalarIT7_EEPKT2_PKS2_PKT4_PKT5_llS5_PT6_ll16rocsparse_order_21rocsparse_index_base_b.has_recursion, 0
	.set _ZN9rocsparseL29bsrmmnt_small_blockdim_kernelILj64ELj8ELj2EliffffEEv20rocsparse_direction_T3_S2_llNS_24const_host_device_scalarIT7_EEPKT2_PKS2_PKT4_PKT5_llS5_PT6_ll16rocsparse_order_21rocsparse_index_base_b.has_indirect_call, 0
	.section	.AMDGPU.csdata,"",@progbits
; Kernel info:
; codeLenInByte = 1400
; TotalNumSgprs: 36
; NumVgprs: 30
; ScratchSize: 0
; MemoryBound: 0
; FloatMode: 240
; IeeeMode: 1
; LDSByteSize: 1024 bytes/workgroup (compile time only)
; SGPRBlocks: 4
; VGPRBlocks: 7
; NumSGPRsForWavesPerEU: 36
; NumVGPRsForWavesPerEU: 30
; Occupancy: 8
; WaveLimiterHint : 0
; COMPUTE_PGM_RSRC2:SCRATCH_EN: 0
; COMPUTE_PGM_RSRC2:USER_SGPR: 6
; COMPUTE_PGM_RSRC2:TRAP_HANDLER: 0
; COMPUTE_PGM_RSRC2:TGID_X_EN: 1
; COMPUTE_PGM_RSRC2:TGID_Y_EN: 0
; COMPUTE_PGM_RSRC2:TGID_Z_EN: 0
; COMPUTE_PGM_RSRC2:TIDIG_COMP_CNT: 0
	.section	.text._ZN9rocsparseL29bsrmmnt_small_blockdim_kernelILj64ELj16ELj2EliffffEEv20rocsparse_direction_T3_S2_llNS_24const_host_device_scalarIT7_EEPKT2_PKS2_PKT4_PKT5_llS5_PT6_ll16rocsparse_order_21rocsparse_index_base_b,"axG",@progbits,_ZN9rocsparseL29bsrmmnt_small_blockdim_kernelILj64ELj16ELj2EliffffEEv20rocsparse_direction_T3_S2_llNS_24const_host_device_scalarIT7_EEPKT2_PKS2_PKT4_PKT5_llS5_PT6_ll16rocsparse_order_21rocsparse_index_base_b,comdat
	.globl	_ZN9rocsparseL29bsrmmnt_small_blockdim_kernelILj64ELj16ELj2EliffffEEv20rocsparse_direction_T3_S2_llNS_24const_host_device_scalarIT7_EEPKT2_PKS2_PKT4_PKT5_llS5_PT6_ll16rocsparse_order_21rocsparse_index_base_b ; -- Begin function _ZN9rocsparseL29bsrmmnt_small_blockdim_kernelILj64ELj16ELj2EliffffEEv20rocsparse_direction_T3_S2_llNS_24const_host_device_scalarIT7_EEPKT2_PKS2_PKT4_PKT5_llS5_PT6_ll16rocsparse_order_21rocsparse_index_base_b
	.p2align	8
	.type	_ZN9rocsparseL29bsrmmnt_small_blockdim_kernelILj64ELj16ELj2EliffffEEv20rocsparse_direction_T3_S2_llNS_24const_host_device_scalarIT7_EEPKT2_PKS2_PKT4_PKT5_llS5_PT6_ll16rocsparse_order_21rocsparse_index_base_b,@function
_ZN9rocsparseL29bsrmmnt_small_blockdim_kernelILj64ELj16ELj2EliffffEEv20rocsparse_direction_T3_S2_llNS_24const_host_device_scalarIT7_EEPKT2_PKS2_PKT4_PKT5_llS5_PT6_ll16rocsparse_order_21rocsparse_index_base_b: ; @_ZN9rocsparseL29bsrmmnt_small_blockdim_kernelILj64ELj16ELj2EliffffEEv20rocsparse_direction_T3_S2_llNS_24const_host_device_scalarIT7_EEPKT2_PKS2_PKT4_PKT5_llS5_PT6_ll16rocsparse_order_21rocsparse_index_base_b
; %bb.0:
	s_load_dwordx4 s[16:19], s[4:5], 0x78
	s_load_dwordx2 s[28:29], s[4:5], 0x20
	s_load_dwordx2 s[30:31], s[4:5], 0x58
	s_waitcnt lgkmcnt(0)
	s_bitcmp1_b32 s18, 0
	s_cselect_b64 s[2:3], -1, 0
	s_xor_b64 s[0:1], s[2:3], -1
	s_and_b64 vcc, exec, s[2:3]
	s_cbranch_vccnz .LBB26_2
; %bb.1:
	s_load_dword s28, s[28:29], 0x0
.LBB26_2:
	s_andn2_b64 vcc, exec, s[0:1]
	s_cbranch_vccnz .LBB26_4
; %bb.3:
	s_load_dword s30, s[30:31], 0x0
.LBB26_4:
	s_waitcnt lgkmcnt(0)
	v_cmp_eq_f32_e64 s[0:1], s28, 0
	v_cmp_eq_f32_e64 s[2:3], s30, 1.0
	s_and_b64 s[0:1], s[0:1], s[2:3]
	s_and_b64 vcc, exec, s[0:1]
	s_cbranch_vccnz .LBB26_30
; %bb.5:
	s_load_dword s0, s[4:5], 0x94
	s_load_dwordx4 s[20:23], s[4:5], 0x0
	s_waitcnt lgkmcnt(0)
	s_and_b32 s0, s0, 0xffff
	s_mul_i32 s6, s6, s0
	v_add_u32_e32 v1, s6, v0
	v_lshrrev_b32_e32 v2, 5, v1
	v_cmp_gt_i32_e32 vcc, s21, v2
	s_and_saveexec_b64 s[0:1], vcc
	s_cbranch_execz .LBB26_30
; %bb.6:
	s_cmp_lt_i32 s22, 1
	s_cbranch_scc1 .LBB26_30
; %bb.7:
	s_load_dwordx8 s[8:15], s[4:5], 0x28
	v_lshlrev_b32_e32 v2, 3, v2
	s_cmp_lg_u32 s16, 1
	v_and_b32_e32 v10, 15, v0
	v_lshrrev_b32_e32 v0, 4, v0
	s_waitcnt lgkmcnt(0)
	global_load_dwordx4 v[4:7], v2, s[8:9]
	s_load_dwordx4 s[24:27], s[4:5], 0x60
	s_load_dwordx2 s[6:7], s[4:5], 0x48
	s_cselect_b64 s[8:9], -1, 0
	s_cmp_eq_u32 s20, 0
	v_mov_b32_e32 v3, 0x300
	s_cselect_b64 s[0:1], -1, 0
	v_lshrrev_b32_e32 v2, 4, v1
	v_bfe_u32 v1, v1, 4, 1
	v_lshl_or_b32 v11, v0, 6, v3
	v_mul_u32_u24_e32 v12, 0xc0, v0
	v_cndmask_b32_e64 v0, 0, 1, s[0:1]
	v_lshlrev_b32_e32 v0, v0, v1
	s_and_b64 s[0:1], s[0:1], exec
	v_lshlrev_b32_e32 v9, 2, v0
	s_waitcnt lgkmcnt(0)
	v_mad_u64_u32 v[0:1], s[0:1], s26, v2, 0
	v_lshlrev_b32_e32 v3, 2, v2
	v_mov_b32_e32 v15, s25
	v_mad_u64_u32 v[1:2], s[0:1], s27, v2, v[1:2]
	v_add_co_u32_e32 v14, vcc, s24, v3
	v_addc_co_u32_e32 v15, vcc, 0, v15, vcc
	v_mov_b32_e32 v17, s13
	v_add_co_u32_e32 v16, vcc, s12, v9
	v_lshlrev_b64 v[0:1], 2, v[0:1]
	v_addc_co_u32_e32 v17, vcc, 0, v17, vcc
	v_mov_b32_e32 v19, s25
	v_add_co_u32_e32 v18, vcc, s24, v0
	v_addc_co_u32_e32 v19, vcc, v19, v1, vcc
	v_mul_u32_u24_e32 v8, 12, v10
	s_mov_b32 s23, 0
	v_cmp_neq_f32_e64 s[4:5], s30, 0
	v_lshl_or_b32 v13, v10, 2, v11
	s_cselect_b32 s16, 4, 8
	v_add_u32_e32 v20, v12, v8
	s_waitcnt vmcnt(0)
	v_subrev_co_u32_e32 v0, vcc, s17, v4
	v_subbrev_co_u32_e32 v1, vcc, 0, v5, vcc
	v_subrev_co_u32_e32 v2, vcc, s17, v6
	v_cmp_lt_i64_e64 s[0:1], v[4:5], v[6:7]
	v_subbrev_co_u32_e32 v3, vcc, 0, v7, vcc
	s_branch .LBB26_9
.LBB26_8:                               ;   in Loop: Header=BB26_9 Depth=1
	s_or_b64 exec, exec, s[2:3]
	s_add_i32 s23, s23, 16
	s_cmp_lt_i32 s23, s22
	s_cbranch_scc0 .LBB26_30
.LBB26_9:                               ; =>This Loop Header: Depth=1
                                        ;     Child Loop BB26_12 Depth 2
                                        ;       Child Loop BB26_16 Depth 3
	v_or_b32_e32 v4, s23, v10
	v_ashrrev_i32_e32 v5, 31, v4
	v_mov_b32_e32 v21, 0
	s_and_saveexec_b64 s[12:13], s[0:1]
	s_cbranch_execz .LBB26_18
; %bb.10:                               ;   in Loop: Header=BB26_9 Depth=1
	v_lshlrev_b64 v[6:7], 2, v[4:5]
	v_mov_b32_e32 v8, s15
	v_add_co_u32_e64 v22, s[2:3], s14, v6
	v_addc_co_u32_e64 v23, s[2:3], v8, v7, s[2:3]
	v_mov_b32_e32 v7, v1
	v_cmp_gt_i32_e32 vcc, s22, v4
	v_mov_b32_e32 v21, 0
	s_mov_b64 s[18:19], 0
	v_mov_b32_e32 v6, v0
	s_branch .LBB26_12
.LBB26_11:                              ;   in Loop: Header=BB26_12 Depth=2
	s_or_b64 exec, exec, s[20:21]
	v_add_co_u32_e64 v6, s[2:3], 16, v6
	v_addc_co_u32_e64 v7, s[2:3], 0, v7, s[2:3]
	v_cmp_ge_i64_e64 s[2:3], v[6:7], v[2:3]
	s_or_b64 s[18:19], s[2:3], s[18:19]
	s_andn2_b64 exec, exec, s[18:19]
	s_cbranch_execz .LBB26_17
.LBB26_12:                              ;   Parent Loop BB26_9 Depth=1
                                        ; =>  This Loop Header: Depth=2
                                        ;       Child Loop BB26_16 Depth 3
	v_add_co_u32_e64 v8, s[2:3], v6, v10
	v_addc_co_u32_e64 v9, s[2:3], 0, v7, s[2:3]
	v_cmp_lt_i64_e64 s[2:3], v[8:9], v[2:3]
	v_mov_b32_e32 v26, 0
	v_mov_b32_e32 v24, 0
	;; [unrolled: 1-line block ×3, first 2 shown]
	s_and_saveexec_b64 s[20:21], s[2:3]
	s_cbranch_execz .LBB26_14
; %bb.13:                               ;   in Loop: Header=BB26_12 Depth=2
	v_lshlrev_b64 v[24:25], 2, v[8:9]
	v_mov_b32_e32 v26, s11
	v_add_co_u32_e64 v24, s[2:3], s10, v24
	v_lshlrev_b64 v[8:9], 4, v[8:9]
	v_addc_co_u32_e64 v25, s[2:3], v26, v25, s[2:3]
	v_add_co_u32_e64 v8, s[2:3], v16, v8
	global_load_dword v28, v[24:25], off
	v_addc_co_u32_e64 v9, s[2:3], v17, v9, s[2:3]
	v_add_co_u32_e64 v26, s[2:3], s16, v8
	v_addc_co_u32_e64 v27, s[2:3], 0, v9, s[2:3]
	global_load_dword v24, v[8:9], off
	global_load_dword v25, v[26:27], off
	s_waitcnt vmcnt(2)
	v_subrev_u32_e32 v8, s17, v28
	v_lshlrev_b32_e32 v26, 1, v8
.LBB26_14:                              ;   in Loop: Header=BB26_12 Depth=2
	s_or_b64 exec, exec, s[20:21]
	ds_write_b32 v13, v26
	s_waitcnt vmcnt(0)
	ds_write2_b32 v20, v24, v25 offset1:1
	s_waitcnt lgkmcnt(0)
	; wave barrier
	s_and_saveexec_b64 s[20:21], vcc
	s_cbranch_execz .LBB26_11
; %bb.15:                               ;   in Loop: Header=BB26_12 Depth=2
	s_mov_b32 s24, 0
	v_mov_b32_e32 v8, v12
.LBB26_16:                              ;   Parent Loop BB26_9 Depth=1
                                        ;     Parent Loop BB26_12 Depth=2
                                        ; =>    This Inner Loop Header: Depth=3
	v_add_u32_e32 v9, s24, v11
	ds_read_b64 v[24:25], v9
	s_add_i32 s24, s24, 8
	s_cmp_lg_u32 s24, 64
	s_waitcnt lgkmcnt(0)
	v_ashrrev_i32_e32 v9, 31, v24
	v_mul_lo_u32 v9, s6, v9
	v_mul_lo_u32 v28, s7, v24
	v_mad_u64_u32 v[26:27], s[2:3], s6, v24, 0
	v_add3_u32 v27, v27, v9, v28
	v_lshlrev_b64 v[26:27], 2, v[26:27]
	v_add_co_u32_e64 v26, s[2:3], v22, v26
	v_addc_co_u32_e64 v27, s[2:3], v23, v27, s[2:3]
	global_load_dword v9, v[26:27], off
	ds_read_b64 v[26:27], v8
	s_waitcnt vmcnt(0) lgkmcnt(0)
	v_fmac_f32_e32 v21, v26, v9
	v_add_u32_e32 v9, 1, v24
	v_ashrrev_i32_e32 v24, 31, v9
	v_mul_lo_u32 v24, s6, v24
	v_mul_lo_u32 v26, s7, v9
	v_mad_u64_u32 v[28:29], s[2:3], s6, v9, 0
	v_add3_u32 v29, v29, v24, v26
	v_lshlrev_b64 v[28:29], 2, v[28:29]
	v_mul_lo_u32 v24, s7, v25
	v_add_co_u32_e64 v28, s[2:3], v22, v28
	v_addc_co_u32_e64 v29, s[2:3], v23, v29, s[2:3]
	global_load_dword v9, v[28:29], off
	s_waitcnt vmcnt(0)
	v_fmac_f32_e32 v21, v27, v9
	v_ashrrev_i32_e32 v9, 31, v25
	v_mul_lo_u32 v9, s6, v9
	v_mad_u64_u32 v[26:27], s[2:3], s6, v25, 0
	v_add3_u32 v27, v27, v9, v24
	v_lshlrev_b64 v[26:27], 2, v[26:27]
	v_add_co_u32_e64 v26, s[2:3], v22, v26
	v_addc_co_u32_e64 v27, s[2:3], v23, v27, s[2:3]
	global_load_dword v9, v[26:27], off
	ds_read2_b32 v[26:27], v8 offset0:3 offset1:4
	v_add_u32_e32 v8, 24, v8
	s_waitcnt vmcnt(0) lgkmcnt(0)
	v_fmac_f32_e32 v21, v26, v9
	v_add_u32_e32 v9, 1, v25
	v_ashrrev_i32_e32 v24, 31, v9
	v_mul_lo_u32 v26, s6, v24
	v_mul_lo_u32 v28, s7, v9
	v_mad_u64_u32 v[24:25], s[2:3], s6, v9, 0
	v_add3_u32 v25, v25, v26, v28
	v_lshlrev_b64 v[24:25], 2, v[24:25]
	v_add_co_u32_e64 v24, s[2:3], v22, v24
	v_addc_co_u32_e64 v25, s[2:3], v23, v25, s[2:3]
	global_load_dword v9, v[24:25], off
	s_waitcnt vmcnt(0)
	v_fmac_f32_e32 v21, v27, v9
	s_cbranch_scc1 .LBB26_16
	s_branch .LBB26_11
.LBB26_17:                              ;   in Loop: Header=BB26_9 Depth=1
	s_or_b64 exec, exec, s[18:19]
.LBB26_18:                              ;   in Loop: Header=BB26_9 Depth=1
	s_or_b64 exec, exec, s[12:13]
	v_cmp_gt_i32_e32 vcc, s22, v4
	s_and_saveexec_b64 s[2:3], vcc
	s_cbranch_execz .LBB26_8
; %bb.19:                               ;   in Loop: Header=BB26_9 Depth=1
	s_mov_b64 s[12:13], -1
	s_and_b64 vcc, exec, s[4:5]
	s_cbranch_vccz .LBB26_25
; %bb.20:                               ;   in Loop: Header=BB26_9 Depth=1
	s_and_b64 vcc, exec, s[8:9]
	s_cbranch_vccz .LBB26_22
; %bb.21:                               ;   in Loop: Header=BB26_9 Depth=1
	v_lshlrev_b64 v[6:7], 2, v[4:5]
	v_mul_f32_e32 v9, s28, v21
	v_add_co_u32_e32 v6, vcc, v18, v6
	v_addc_co_u32_e32 v7, vcc, v19, v7, vcc
	global_load_dword v8, v[6:7], off
	s_mov_b64 s[12:13], 0
	s_waitcnt vmcnt(0)
	v_fmac_f32_e32 v9, s30, v8
	global_store_dword v[6:7], v9, off
.LBB26_22:                              ;   in Loop: Header=BB26_9 Depth=1
	s_andn2_b64 vcc, exec, s[12:13]
	s_cbranch_vccnz .LBB26_24
; %bb.23:                               ;   in Loop: Header=BB26_9 Depth=1
	v_mul_lo_u32 v8, s27, v4
	v_mul_lo_u32 v9, s26, v5
	v_mad_u64_u32 v[6:7], s[12:13], s26, v4, 0
	v_add3_u32 v7, v7, v9, v8
	v_lshlrev_b64 v[6:7], 2, v[6:7]
	v_mul_f32_e32 v9, s28, v21
	v_add_co_u32_e32 v6, vcc, v14, v6
	v_addc_co_u32_e32 v7, vcc, v15, v7, vcc
	global_load_dword v8, v[6:7], off
	s_waitcnt vmcnt(0)
	v_fmac_f32_e32 v9, s30, v8
	global_store_dword v[6:7], v9, off
.LBB26_24:                              ;   in Loop: Header=BB26_9 Depth=1
	s_mov_b64 s[12:13], 0
.LBB26_25:                              ;   in Loop: Header=BB26_9 Depth=1
	s_andn2_b64 vcc, exec, s[12:13]
	s_cbranch_vccnz .LBB26_8
; %bb.26:                               ;   in Loop: Header=BB26_9 Depth=1
	v_mul_f32_e32 v6, s28, v21
	s_mov_b64 s[12:13], -1
	s_and_b64 vcc, exec, s[8:9]
	s_cbranch_vccz .LBB26_28
; %bb.27:                               ;   in Loop: Header=BB26_9 Depth=1
	v_lshlrev_b64 v[7:8], 2, v[4:5]
	s_mov_b64 s[12:13], 0
	v_add_co_u32_e32 v7, vcc, v18, v7
	v_addc_co_u32_e32 v8, vcc, v19, v8, vcc
	global_store_dword v[7:8], v6, off
.LBB26_28:                              ;   in Loop: Header=BB26_9 Depth=1
	s_andn2_b64 vcc, exec, s[12:13]
	s_cbranch_vccnz .LBB26_8
; %bb.29:                               ;   in Loop: Header=BB26_9 Depth=1
	v_mul_lo_u32 v7, s27, v4
	v_mul_lo_u32 v8, s26, v5
	v_mad_u64_u32 v[4:5], s[12:13], s26, v4, 0
	v_add3_u32 v5, v5, v8, v7
	v_lshlrev_b64 v[4:5], 2, v[4:5]
	v_add_co_u32_e32 v4, vcc, v14, v4
	v_addc_co_u32_e32 v5, vcc, v15, v5, vcc
	global_store_dword v[4:5], v6, off
	s_branch .LBB26_8
.LBB26_30:
	s_endpgm
	.section	.rodata,"a",@progbits
	.p2align	6, 0x0
	.amdhsa_kernel _ZN9rocsparseL29bsrmmnt_small_blockdim_kernelILj64ELj16ELj2EliffffEEv20rocsparse_direction_T3_S2_llNS_24const_host_device_scalarIT7_EEPKT2_PKS2_PKT4_PKT5_llS5_PT6_ll16rocsparse_order_21rocsparse_index_base_b
		.amdhsa_group_segment_fixed_size 1024
		.amdhsa_private_segment_fixed_size 0
		.amdhsa_kernarg_size 392
		.amdhsa_user_sgpr_count 6
		.amdhsa_user_sgpr_private_segment_buffer 1
		.amdhsa_user_sgpr_dispatch_ptr 0
		.amdhsa_user_sgpr_queue_ptr 0
		.amdhsa_user_sgpr_kernarg_segment_ptr 1
		.amdhsa_user_sgpr_dispatch_id 0
		.amdhsa_user_sgpr_flat_scratch_init 0
		.amdhsa_user_sgpr_private_segment_size 0
		.amdhsa_uses_dynamic_stack 0
		.amdhsa_system_sgpr_private_segment_wavefront_offset 0
		.amdhsa_system_sgpr_workgroup_id_x 1
		.amdhsa_system_sgpr_workgroup_id_y 0
		.amdhsa_system_sgpr_workgroup_id_z 0
		.amdhsa_system_sgpr_workgroup_info 0
		.amdhsa_system_vgpr_workitem_id 0
		.amdhsa_next_free_vgpr 30
		.amdhsa_next_free_sgpr 32
		.amdhsa_reserve_vcc 1
		.amdhsa_reserve_flat_scratch 0
		.amdhsa_float_round_mode_32 0
		.amdhsa_float_round_mode_16_64 0
		.amdhsa_float_denorm_mode_32 3
		.amdhsa_float_denorm_mode_16_64 3
		.amdhsa_dx10_clamp 1
		.amdhsa_ieee_mode 1
		.amdhsa_fp16_overflow 0
		.amdhsa_exception_fp_ieee_invalid_op 0
		.amdhsa_exception_fp_denorm_src 0
		.amdhsa_exception_fp_ieee_div_zero 0
		.amdhsa_exception_fp_ieee_overflow 0
		.amdhsa_exception_fp_ieee_underflow 0
		.amdhsa_exception_fp_ieee_inexact 0
		.amdhsa_exception_int_div_zero 0
	.end_amdhsa_kernel
	.section	.text._ZN9rocsparseL29bsrmmnt_small_blockdim_kernelILj64ELj16ELj2EliffffEEv20rocsparse_direction_T3_S2_llNS_24const_host_device_scalarIT7_EEPKT2_PKS2_PKT4_PKT5_llS5_PT6_ll16rocsparse_order_21rocsparse_index_base_b,"axG",@progbits,_ZN9rocsparseL29bsrmmnt_small_blockdim_kernelILj64ELj16ELj2EliffffEEv20rocsparse_direction_T3_S2_llNS_24const_host_device_scalarIT7_EEPKT2_PKS2_PKT4_PKT5_llS5_PT6_ll16rocsparse_order_21rocsparse_index_base_b,comdat
.Lfunc_end26:
	.size	_ZN9rocsparseL29bsrmmnt_small_blockdim_kernelILj64ELj16ELj2EliffffEEv20rocsparse_direction_T3_S2_llNS_24const_host_device_scalarIT7_EEPKT2_PKS2_PKT4_PKT5_llS5_PT6_ll16rocsparse_order_21rocsparse_index_base_b, .Lfunc_end26-_ZN9rocsparseL29bsrmmnt_small_blockdim_kernelILj64ELj16ELj2EliffffEEv20rocsparse_direction_T3_S2_llNS_24const_host_device_scalarIT7_EEPKT2_PKS2_PKT4_PKT5_llS5_PT6_ll16rocsparse_order_21rocsparse_index_base_b
                                        ; -- End function
	.set _ZN9rocsparseL29bsrmmnt_small_blockdim_kernelILj64ELj16ELj2EliffffEEv20rocsparse_direction_T3_S2_llNS_24const_host_device_scalarIT7_EEPKT2_PKS2_PKT4_PKT5_llS5_PT6_ll16rocsparse_order_21rocsparse_index_base_b.num_vgpr, 30
	.set _ZN9rocsparseL29bsrmmnt_small_blockdim_kernelILj64ELj16ELj2EliffffEEv20rocsparse_direction_T3_S2_llNS_24const_host_device_scalarIT7_EEPKT2_PKS2_PKT4_PKT5_llS5_PT6_ll16rocsparse_order_21rocsparse_index_base_b.num_agpr, 0
	.set _ZN9rocsparseL29bsrmmnt_small_blockdim_kernelILj64ELj16ELj2EliffffEEv20rocsparse_direction_T3_S2_llNS_24const_host_device_scalarIT7_EEPKT2_PKS2_PKT4_PKT5_llS5_PT6_ll16rocsparse_order_21rocsparse_index_base_b.numbered_sgpr, 32
	.set _ZN9rocsparseL29bsrmmnt_small_blockdim_kernelILj64ELj16ELj2EliffffEEv20rocsparse_direction_T3_S2_llNS_24const_host_device_scalarIT7_EEPKT2_PKS2_PKT4_PKT5_llS5_PT6_ll16rocsparse_order_21rocsparse_index_base_b.num_named_barrier, 0
	.set _ZN9rocsparseL29bsrmmnt_small_blockdim_kernelILj64ELj16ELj2EliffffEEv20rocsparse_direction_T3_S2_llNS_24const_host_device_scalarIT7_EEPKT2_PKS2_PKT4_PKT5_llS5_PT6_ll16rocsparse_order_21rocsparse_index_base_b.private_seg_size, 0
	.set _ZN9rocsparseL29bsrmmnt_small_blockdim_kernelILj64ELj16ELj2EliffffEEv20rocsparse_direction_T3_S2_llNS_24const_host_device_scalarIT7_EEPKT2_PKS2_PKT4_PKT5_llS5_PT6_ll16rocsparse_order_21rocsparse_index_base_b.uses_vcc, 1
	.set _ZN9rocsparseL29bsrmmnt_small_blockdim_kernelILj64ELj16ELj2EliffffEEv20rocsparse_direction_T3_S2_llNS_24const_host_device_scalarIT7_EEPKT2_PKS2_PKT4_PKT5_llS5_PT6_ll16rocsparse_order_21rocsparse_index_base_b.uses_flat_scratch, 0
	.set _ZN9rocsparseL29bsrmmnt_small_blockdim_kernelILj64ELj16ELj2EliffffEEv20rocsparse_direction_T3_S2_llNS_24const_host_device_scalarIT7_EEPKT2_PKS2_PKT4_PKT5_llS5_PT6_ll16rocsparse_order_21rocsparse_index_base_b.has_dyn_sized_stack, 0
	.set _ZN9rocsparseL29bsrmmnt_small_blockdim_kernelILj64ELj16ELj2EliffffEEv20rocsparse_direction_T3_S2_llNS_24const_host_device_scalarIT7_EEPKT2_PKS2_PKT4_PKT5_llS5_PT6_ll16rocsparse_order_21rocsparse_index_base_b.has_recursion, 0
	.set _ZN9rocsparseL29bsrmmnt_small_blockdim_kernelILj64ELj16ELj2EliffffEEv20rocsparse_direction_T3_S2_llNS_24const_host_device_scalarIT7_EEPKT2_PKS2_PKT4_PKT5_llS5_PT6_ll16rocsparse_order_21rocsparse_index_base_b.has_indirect_call, 0
	.section	.AMDGPU.csdata,"",@progbits
; Kernel info:
; codeLenInByte = 1400
; TotalNumSgprs: 36
; NumVgprs: 30
; ScratchSize: 0
; MemoryBound: 0
; FloatMode: 240
; IeeeMode: 1
; LDSByteSize: 1024 bytes/workgroup (compile time only)
; SGPRBlocks: 4
; VGPRBlocks: 7
; NumSGPRsForWavesPerEU: 36
; NumVGPRsForWavesPerEU: 30
; Occupancy: 8
; WaveLimiterHint : 0
; COMPUTE_PGM_RSRC2:SCRATCH_EN: 0
; COMPUTE_PGM_RSRC2:USER_SGPR: 6
; COMPUTE_PGM_RSRC2:TRAP_HANDLER: 0
; COMPUTE_PGM_RSRC2:TGID_X_EN: 1
; COMPUTE_PGM_RSRC2:TGID_Y_EN: 0
; COMPUTE_PGM_RSRC2:TGID_Z_EN: 0
; COMPUTE_PGM_RSRC2:TIDIG_COMP_CNT: 0
	.section	.text._ZN9rocsparseL29bsrmmnt_small_blockdim_kernelILj64ELj32ELj2EliffffEEv20rocsparse_direction_T3_S2_llNS_24const_host_device_scalarIT7_EEPKT2_PKS2_PKT4_PKT5_llS5_PT6_ll16rocsparse_order_21rocsparse_index_base_b,"axG",@progbits,_ZN9rocsparseL29bsrmmnt_small_blockdim_kernelILj64ELj32ELj2EliffffEEv20rocsparse_direction_T3_S2_llNS_24const_host_device_scalarIT7_EEPKT2_PKS2_PKT4_PKT5_llS5_PT6_ll16rocsparse_order_21rocsparse_index_base_b,comdat
	.globl	_ZN9rocsparseL29bsrmmnt_small_blockdim_kernelILj64ELj32ELj2EliffffEEv20rocsparse_direction_T3_S2_llNS_24const_host_device_scalarIT7_EEPKT2_PKS2_PKT4_PKT5_llS5_PT6_ll16rocsparse_order_21rocsparse_index_base_b ; -- Begin function _ZN9rocsparseL29bsrmmnt_small_blockdim_kernelILj64ELj32ELj2EliffffEEv20rocsparse_direction_T3_S2_llNS_24const_host_device_scalarIT7_EEPKT2_PKS2_PKT4_PKT5_llS5_PT6_ll16rocsparse_order_21rocsparse_index_base_b
	.p2align	8
	.type	_ZN9rocsparseL29bsrmmnt_small_blockdim_kernelILj64ELj32ELj2EliffffEEv20rocsparse_direction_T3_S2_llNS_24const_host_device_scalarIT7_EEPKT2_PKS2_PKT4_PKT5_llS5_PT6_ll16rocsparse_order_21rocsparse_index_base_b,@function
_ZN9rocsparseL29bsrmmnt_small_blockdim_kernelILj64ELj32ELj2EliffffEEv20rocsparse_direction_T3_S2_llNS_24const_host_device_scalarIT7_EEPKT2_PKS2_PKT4_PKT5_llS5_PT6_ll16rocsparse_order_21rocsparse_index_base_b: ; @_ZN9rocsparseL29bsrmmnt_small_blockdim_kernelILj64ELj32ELj2EliffffEEv20rocsparse_direction_T3_S2_llNS_24const_host_device_scalarIT7_EEPKT2_PKS2_PKT4_PKT5_llS5_PT6_ll16rocsparse_order_21rocsparse_index_base_b
; %bb.0:
	s_load_dwordx4 s[16:19], s[4:5], 0x78
	s_load_dwordx2 s[28:29], s[4:5], 0x20
	s_load_dwordx2 s[30:31], s[4:5], 0x58
	s_waitcnt lgkmcnt(0)
	s_bitcmp1_b32 s18, 0
	s_cselect_b64 s[2:3], -1, 0
	s_xor_b64 s[0:1], s[2:3], -1
	s_and_b64 vcc, exec, s[2:3]
	s_cbranch_vccnz .LBB27_2
; %bb.1:
	s_load_dword s28, s[28:29], 0x0
.LBB27_2:
	s_andn2_b64 vcc, exec, s[0:1]
	s_cbranch_vccnz .LBB27_4
; %bb.3:
	s_load_dword s30, s[30:31], 0x0
.LBB27_4:
	s_waitcnt lgkmcnt(0)
	v_cmp_eq_f32_e64 s[0:1], s28, 0
	v_cmp_eq_f32_e64 s[2:3], s30, 1.0
	s_and_b64 s[0:1], s[0:1], s[2:3]
	s_and_b64 vcc, exec, s[0:1]
	s_cbranch_vccnz .LBB27_30
; %bb.5:
	s_load_dword s0, s[4:5], 0x94
	s_load_dwordx4 s[20:23], s[4:5], 0x0
	s_waitcnt lgkmcnt(0)
	s_and_b32 s0, s0, 0xffff
	s_mul_i32 s6, s6, s0
	v_add_u32_e32 v1, s6, v0
	v_lshrrev_b32_e32 v2, 6, v1
	v_cmp_gt_i32_e32 vcc, s21, v2
	s_and_saveexec_b64 s[0:1], vcc
	s_cbranch_execz .LBB27_30
; %bb.6:
	s_cmp_lt_i32 s22, 1
	s_cbranch_scc1 .LBB27_30
; %bb.7:
	s_load_dwordx8 s[8:15], s[4:5], 0x28
	v_lshlrev_b32_e32 v2, 3, v2
	s_cmp_lg_u32 s16, 1
	v_and_b32_e32 v10, 31, v0
	v_lshrrev_b32_e32 v0, 5, v0
	s_waitcnt lgkmcnt(0)
	global_load_dwordx4 v[4:7], v2, s[8:9]
	s_load_dwordx4 s[24:27], s[4:5], 0x60
	s_load_dwordx2 s[6:7], s[4:5], 0x48
	s_cselect_b64 s[8:9], -1, 0
	s_cmp_eq_u32 s20, 0
	v_mov_b32_e32 v3, 0x300
	s_cselect_b64 s[0:1], -1, 0
	v_lshrrev_b32_e32 v2, 5, v1
	v_bfe_u32 v1, v1, 5, 1
	v_lshl_or_b32 v11, v0, 7, v3
	v_mul_u32_u24_e32 v12, 0x180, v0
	v_cndmask_b32_e64 v0, 0, 1, s[0:1]
	v_lshlrev_b32_e32 v0, v0, v1
	s_and_b64 s[0:1], s[0:1], exec
	v_lshlrev_b32_e32 v9, 2, v0
	s_waitcnt lgkmcnt(0)
	v_mad_u64_u32 v[0:1], s[0:1], s26, v2, 0
	v_lshlrev_b32_e32 v3, 2, v2
	v_mov_b32_e32 v15, s25
	v_mad_u64_u32 v[1:2], s[0:1], s27, v2, v[1:2]
	v_add_co_u32_e32 v14, vcc, s24, v3
	v_addc_co_u32_e32 v15, vcc, 0, v15, vcc
	v_mov_b32_e32 v17, s13
	v_add_co_u32_e32 v16, vcc, s12, v9
	v_lshlrev_b64 v[0:1], 2, v[0:1]
	v_addc_co_u32_e32 v17, vcc, 0, v17, vcc
	v_mov_b32_e32 v19, s25
	v_add_co_u32_e32 v18, vcc, s24, v0
	v_addc_co_u32_e32 v19, vcc, v19, v1, vcc
	v_mul_u32_u24_e32 v8, 12, v10
	s_mov_b32 s23, 0
	v_cmp_neq_f32_e64 s[4:5], s30, 0
	v_lshl_or_b32 v13, v10, 2, v11
	s_cselect_b32 s16, 4, 8
	v_add_u32_e32 v20, v12, v8
	s_waitcnt vmcnt(0)
	v_subrev_co_u32_e32 v0, vcc, s17, v4
	v_subbrev_co_u32_e32 v1, vcc, 0, v5, vcc
	v_subrev_co_u32_e32 v2, vcc, s17, v6
	v_cmp_lt_i64_e64 s[0:1], v[4:5], v[6:7]
	v_subbrev_co_u32_e32 v3, vcc, 0, v7, vcc
	s_branch .LBB27_9
.LBB27_8:                               ;   in Loop: Header=BB27_9 Depth=1
	s_or_b64 exec, exec, s[2:3]
	s_add_i32 s23, s23, 32
	s_cmp_lt_i32 s23, s22
	s_cbranch_scc0 .LBB27_30
.LBB27_9:                               ; =>This Loop Header: Depth=1
                                        ;     Child Loop BB27_12 Depth 2
                                        ;       Child Loop BB27_16 Depth 3
	v_or_b32_e32 v4, s23, v10
	v_ashrrev_i32_e32 v5, 31, v4
	v_mov_b32_e32 v21, 0
	s_and_saveexec_b64 s[12:13], s[0:1]
	s_cbranch_execz .LBB27_18
; %bb.10:                               ;   in Loop: Header=BB27_9 Depth=1
	v_lshlrev_b64 v[6:7], 2, v[4:5]
	v_mov_b32_e32 v8, s15
	v_add_co_u32_e64 v22, s[2:3], s14, v6
	v_addc_co_u32_e64 v23, s[2:3], v8, v7, s[2:3]
	v_mov_b32_e32 v7, v1
	v_cmp_gt_i32_e32 vcc, s22, v4
	v_mov_b32_e32 v21, 0
	s_mov_b64 s[18:19], 0
	v_mov_b32_e32 v6, v0
	s_branch .LBB27_12
.LBB27_11:                              ;   in Loop: Header=BB27_12 Depth=2
	s_or_b64 exec, exec, s[20:21]
	v_add_co_u32_e64 v6, s[2:3], 32, v6
	v_addc_co_u32_e64 v7, s[2:3], 0, v7, s[2:3]
	v_cmp_ge_i64_e64 s[2:3], v[6:7], v[2:3]
	s_or_b64 s[18:19], s[2:3], s[18:19]
	s_andn2_b64 exec, exec, s[18:19]
	s_cbranch_execz .LBB27_17
.LBB27_12:                              ;   Parent Loop BB27_9 Depth=1
                                        ; =>  This Loop Header: Depth=2
                                        ;       Child Loop BB27_16 Depth 3
	v_add_co_u32_e64 v8, s[2:3], v6, v10
	v_addc_co_u32_e64 v9, s[2:3], 0, v7, s[2:3]
	v_cmp_lt_i64_e64 s[2:3], v[8:9], v[2:3]
	v_mov_b32_e32 v26, 0
	v_mov_b32_e32 v24, 0
	;; [unrolled: 1-line block ×3, first 2 shown]
	s_and_saveexec_b64 s[20:21], s[2:3]
	s_cbranch_execz .LBB27_14
; %bb.13:                               ;   in Loop: Header=BB27_12 Depth=2
	v_lshlrev_b64 v[24:25], 2, v[8:9]
	v_mov_b32_e32 v26, s11
	v_add_co_u32_e64 v24, s[2:3], s10, v24
	v_lshlrev_b64 v[8:9], 4, v[8:9]
	v_addc_co_u32_e64 v25, s[2:3], v26, v25, s[2:3]
	v_add_co_u32_e64 v8, s[2:3], v16, v8
	global_load_dword v28, v[24:25], off
	v_addc_co_u32_e64 v9, s[2:3], v17, v9, s[2:3]
	v_add_co_u32_e64 v26, s[2:3], s16, v8
	v_addc_co_u32_e64 v27, s[2:3], 0, v9, s[2:3]
	global_load_dword v24, v[8:9], off
	global_load_dword v25, v[26:27], off
	s_waitcnt vmcnt(2)
	v_subrev_u32_e32 v8, s17, v28
	v_lshlrev_b32_e32 v26, 1, v8
.LBB27_14:                              ;   in Loop: Header=BB27_12 Depth=2
	s_or_b64 exec, exec, s[20:21]
	ds_write_b32 v13, v26
	s_waitcnt vmcnt(0)
	ds_write2_b32 v20, v24, v25 offset1:1
	s_waitcnt lgkmcnt(0)
	; wave barrier
	s_and_saveexec_b64 s[20:21], vcc
	s_cbranch_execz .LBB27_11
; %bb.15:                               ;   in Loop: Header=BB27_12 Depth=2
	s_mov_b32 s24, 0
	v_mov_b32_e32 v8, v12
.LBB27_16:                              ;   Parent Loop BB27_9 Depth=1
                                        ;     Parent Loop BB27_12 Depth=2
                                        ; =>    This Inner Loop Header: Depth=3
	v_add_u32_e32 v9, s24, v11
	ds_read_b64 v[24:25], v9
	s_add_i32 s24, s24, 8
	s_cmpk_lg_i32 s24, 0x80
	s_waitcnt lgkmcnt(0)
	v_ashrrev_i32_e32 v9, 31, v24
	v_mul_lo_u32 v9, s6, v9
	v_mul_lo_u32 v28, s7, v24
	v_mad_u64_u32 v[26:27], s[2:3], s6, v24, 0
	v_add3_u32 v27, v27, v9, v28
	v_lshlrev_b64 v[26:27], 2, v[26:27]
	v_add_co_u32_e64 v26, s[2:3], v22, v26
	v_addc_co_u32_e64 v27, s[2:3], v23, v27, s[2:3]
	global_load_dword v9, v[26:27], off
	ds_read_b64 v[26:27], v8
	s_waitcnt vmcnt(0) lgkmcnt(0)
	v_fmac_f32_e32 v21, v26, v9
	v_add_u32_e32 v9, 1, v24
	v_ashrrev_i32_e32 v24, 31, v9
	v_mul_lo_u32 v24, s6, v24
	v_mul_lo_u32 v26, s7, v9
	v_mad_u64_u32 v[28:29], s[2:3], s6, v9, 0
	v_add3_u32 v29, v29, v24, v26
	v_lshlrev_b64 v[28:29], 2, v[28:29]
	v_mul_lo_u32 v24, s7, v25
	v_add_co_u32_e64 v28, s[2:3], v22, v28
	v_addc_co_u32_e64 v29, s[2:3], v23, v29, s[2:3]
	global_load_dword v9, v[28:29], off
	s_waitcnt vmcnt(0)
	v_fmac_f32_e32 v21, v27, v9
	v_ashrrev_i32_e32 v9, 31, v25
	v_mul_lo_u32 v9, s6, v9
	v_mad_u64_u32 v[26:27], s[2:3], s6, v25, 0
	v_add3_u32 v27, v27, v9, v24
	v_lshlrev_b64 v[26:27], 2, v[26:27]
	v_add_co_u32_e64 v26, s[2:3], v22, v26
	v_addc_co_u32_e64 v27, s[2:3], v23, v27, s[2:3]
	global_load_dword v9, v[26:27], off
	ds_read2_b32 v[26:27], v8 offset0:3 offset1:4
	v_add_u32_e32 v8, 24, v8
	s_waitcnt vmcnt(0) lgkmcnt(0)
	v_fmac_f32_e32 v21, v26, v9
	v_add_u32_e32 v9, 1, v25
	v_ashrrev_i32_e32 v24, 31, v9
	v_mul_lo_u32 v26, s6, v24
	v_mul_lo_u32 v28, s7, v9
	v_mad_u64_u32 v[24:25], s[2:3], s6, v9, 0
	v_add3_u32 v25, v25, v26, v28
	v_lshlrev_b64 v[24:25], 2, v[24:25]
	v_add_co_u32_e64 v24, s[2:3], v22, v24
	v_addc_co_u32_e64 v25, s[2:3], v23, v25, s[2:3]
	global_load_dword v9, v[24:25], off
	s_waitcnt vmcnt(0)
	v_fmac_f32_e32 v21, v27, v9
	s_cbranch_scc1 .LBB27_16
	s_branch .LBB27_11
.LBB27_17:                              ;   in Loop: Header=BB27_9 Depth=1
	s_or_b64 exec, exec, s[18:19]
.LBB27_18:                              ;   in Loop: Header=BB27_9 Depth=1
	s_or_b64 exec, exec, s[12:13]
	v_cmp_gt_i32_e32 vcc, s22, v4
	s_and_saveexec_b64 s[2:3], vcc
	s_cbranch_execz .LBB27_8
; %bb.19:                               ;   in Loop: Header=BB27_9 Depth=1
	s_mov_b64 s[12:13], -1
	s_and_b64 vcc, exec, s[4:5]
	s_cbranch_vccz .LBB27_25
; %bb.20:                               ;   in Loop: Header=BB27_9 Depth=1
	s_and_b64 vcc, exec, s[8:9]
	s_cbranch_vccz .LBB27_22
; %bb.21:                               ;   in Loop: Header=BB27_9 Depth=1
	v_lshlrev_b64 v[6:7], 2, v[4:5]
	v_mul_f32_e32 v9, s28, v21
	v_add_co_u32_e32 v6, vcc, v18, v6
	v_addc_co_u32_e32 v7, vcc, v19, v7, vcc
	global_load_dword v8, v[6:7], off
	s_mov_b64 s[12:13], 0
	s_waitcnt vmcnt(0)
	v_fmac_f32_e32 v9, s30, v8
	global_store_dword v[6:7], v9, off
.LBB27_22:                              ;   in Loop: Header=BB27_9 Depth=1
	s_andn2_b64 vcc, exec, s[12:13]
	s_cbranch_vccnz .LBB27_24
; %bb.23:                               ;   in Loop: Header=BB27_9 Depth=1
	v_mul_lo_u32 v8, s27, v4
	v_mul_lo_u32 v9, s26, v5
	v_mad_u64_u32 v[6:7], s[12:13], s26, v4, 0
	v_add3_u32 v7, v7, v9, v8
	v_lshlrev_b64 v[6:7], 2, v[6:7]
	v_mul_f32_e32 v9, s28, v21
	v_add_co_u32_e32 v6, vcc, v14, v6
	v_addc_co_u32_e32 v7, vcc, v15, v7, vcc
	global_load_dword v8, v[6:7], off
	s_waitcnt vmcnt(0)
	v_fmac_f32_e32 v9, s30, v8
	global_store_dword v[6:7], v9, off
.LBB27_24:                              ;   in Loop: Header=BB27_9 Depth=1
	s_mov_b64 s[12:13], 0
.LBB27_25:                              ;   in Loop: Header=BB27_9 Depth=1
	s_andn2_b64 vcc, exec, s[12:13]
	s_cbranch_vccnz .LBB27_8
; %bb.26:                               ;   in Loop: Header=BB27_9 Depth=1
	v_mul_f32_e32 v6, s28, v21
	s_mov_b64 s[12:13], -1
	s_and_b64 vcc, exec, s[8:9]
	s_cbranch_vccz .LBB27_28
; %bb.27:                               ;   in Loop: Header=BB27_9 Depth=1
	v_lshlrev_b64 v[7:8], 2, v[4:5]
	s_mov_b64 s[12:13], 0
	v_add_co_u32_e32 v7, vcc, v18, v7
	v_addc_co_u32_e32 v8, vcc, v19, v8, vcc
	global_store_dword v[7:8], v6, off
.LBB27_28:                              ;   in Loop: Header=BB27_9 Depth=1
	s_andn2_b64 vcc, exec, s[12:13]
	s_cbranch_vccnz .LBB27_8
; %bb.29:                               ;   in Loop: Header=BB27_9 Depth=1
	v_mul_lo_u32 v7, s27, v4
	v_mul_lo_u32 v8, s26, v5
	v_mad_u64_u32 v[4:5], s[12:13], s26, v4, 0
	v_add3_u32 v5, v5, v8, v7
	v_lshlrev_b64 v[4:5], 2, v[4:5]
	v_add_co_u32_e32 v4, vcc, v14, v4
	v_addc_co_u32_e32 v5, vcc, v15, v5, vcc
	global_store_dword v[4:5], v6, off
	s_branch .LBB27_8
.LBB27_30:
	s_endpgm
	.section	.rodata,"a",@progbits
	.p2align	6, 0x0
	.amdhsa_kernel _ZN9rocsparseL29bsrmmnt_small_blockdim_kernelILj64ELj32ELj2EliffffEEv20rocsparse_direction_T3_S2_llNS_24const_host_device_scalarIT7_EEPKT2_PKS2_PKT4_PKT5_llS5_PT6_ll16rocsparse_order_21rocsparse_index_base_b
		.amdhsa_group_segment_fixed_size 1024
		.amdhsa_private_segment_fixed_size 0
		.amdhsa_kernarg_size 392
		.amdhsa_user_sgpr_count 6
		.amdhsa_user_sgpr_private_segment_buffer 1
		.amdhsa_user_sgpr_dispatch_ptr 0
		.amdhsa_user_sgpr_queue_ptr 0
		.amdhsa_user_sgpr_kernarg_segment_ptr 1
		.amdhsa_user_sgpr_dispatch_id 0
		.amdhsa_user_sgpr_flat_scratch_init 0
		.amdhsa_user_sgpr_private_segment_size 0
		.amdhsa_uses_dynamic_stack 0
		.amdhsa_system_sgpr_private_segment_wavefront_offset 0
		.amdhsa_system_sgpr_workgroup_id_x 1
		.amdhsa_system_sgpr_workgroup_id_y 0
		.amdhsa_system_sgpr_workgroup_id_z 0
		.amdhsa_system_sgpr_workgroup_info 0
		.amdhsa_system_vgpr_workitem_id 0
		.amdhsa_next_free_vgpr 30
		.amdhsa_next_free_sgpr 32
		.amdhsa_reserve_vcc 1
		.amdhsa_reserve_flat_scratch 0
		.amdhsa_float_round_mode_32 0
		.amdhsa_float_round_mode_16_64 0
		.amdhsa_float_denorm_mode_32 3
		.amdhsa_float_denorm_mode_16_64 3
		.amdhsa_dx10_clamp 1
		.amdhsa_ieee_mode 1
		.amdhsa_fp16_overflow 0
		.amdhsa_exception_fp_ieee_invalid_op 0
		.amdhsa_exception_fp_denorm_src 0
		.amdhsa_exception_fp_ieee_div_zero 0
		.amdhsa_exception_fp_ieee_overflow 0
		.amdhsa_exception_fp_ieee_underflow 0
		.amdhsa_exception_fp_ieee_inexact 0
		.amdhsa_exception_int_div_zero 0
	.end_amdhsa_kernel
	.section	.text._ZN9rocsparseL29bsrmmnt_small_blockdim_kernelILj64ELj32ELj2EliffffEEv20rocsparse_direction_T3_S2_llNS_24const_host_device_scalarIT7_EEPKT2_PKS2_PKT4_PKT5_llS5_PT6_ll16rocsparse_order_21rocsparse_index_base_b,"axG",@progbits,_ZN9rocsparseL29bsrmmnt_small_blockdim_kernelILj64ELj32ELj2EliffffEEv20rocsparse_direction_T3_S2_llNS_24const_host_device_scalarIT7_EEPKT2_PKS2_PKT4_PKT5_llS5_PT6_ll16rocsparse_order_21rocsparse_index_base_b,comdat
.Lfunc_end27:
	.size	_ZN9rocsparseL29bsrmmnt_small_blockdim_kernelILj64ELj32ELj2EliffffEEv20rocsparse_direction_T3_S2_llNS_24const_host_device_scalarIT7_EEPKT2_PKS2_PKT4_PKT5_llS5_PT6_ll16rocsparse_order_21rocsparse_index_base_b, .Lfunc_end27-_ZN9rocsparseL29bsrmmnt_small_blockdim_kernelILj64ELj32ELj2EliffffEEv20rocsparse_direction_T3_S2_llNS_24const_host_device_scalarIT7_EEPKT2_PKS2_PKT4_PKT5_llS5_PT6_ll16rocsparse_order_21rocsparse_index_base_b
                                        ; -- End function
	.set _ZN9rocsparseL29bsrmmnt_small_blockdim_kernelILj64ELj32ELj2EliffffEEv20rocsparse_direction_T3_S2_llNS_24const_host_device_scalarIT7_EEPKT2_PKS2_PKT4_PKT5_llS5_PT6_ll16rocsparse_order_21rocsparse_index_base_b.num_vgpr, 30
	.set _ZN9rocsparseL29bsrmmnt_small_blockdim_kernelILj64ELj32ELj2EliffffEEv20rocsparse_direction_T3_S2_llNS_24const_host_device_scalarIT7_EEPKT2_PKS2_PKT4_PKT5_llS5_PT6_ll16rocsparse_order_21rocsparse_index_base_b.num_agpr, 0
	.set _ZN9rocsparseL29bsrmmnt_small_blockdim_kernelILj64ELj32ELj2EliffffEEv20rocsparse_direction_T3_S2_llNS_24const_host_device_scalarIT7_EEPKT2_PKS2_PKT4_PKT5_llS5_PT6_ll16rocsparse_order_21rocsparse_index_base_b.numbered_sgpr, 32
	.set _ZN9rocsparseL29bsrmmnt_small_blockdim_kernelILj64ELj32ELj2EliffffEEv20rocsparse_direction_T3_S2_llNS_24const_host_device_scalarIT7_EEPKT2_PKS2_PKT4_PKT5_llS5_PT6_ll16rocsparse_order_21rocsparse_index_base_b.num_named_barrier, 0
	.set _ZN9rocsparseL29bsrmmnt_small_blockdim_kernelILj64ELj32ELj2EliffffEEv20rocsparse_direction_T3_S2_llNS_24const_host_device_scalarIT7_EEPKT2_PKS2_PKT4_PKT5_llS5_PT6_ll16rocsparse_order_21rocsparse_index_base_b.private_seg_size, 0
	.set _ZN9rocsparseL29bsrmmnt_small_blockdim_kernelILj64ELj32ELj2EliffffEEv20rocsparse_direction_T3_S2_llNS_24const_host_device_scalarIT7_EEPKT2_PKS2_PKT4_PKT5_llS5_PT6_ll16rocsparse_order_21rocsparse_index_base_b.uses_vcc, 1
	.set _ZN9rocsparseL29bsrmmnt_small_blockdim_kernelILj64ELj32ELj2EliffffEEv20rocsparse_direction_T3_S2_llNS_24const_host_device_scalarIT7_EEPKT2_PKS2_PKT4_PKT5_llS5_PT6_ll16rocsparse_order_21rocsparse_index_base_b.uses_flat_scratch, 0
	.set _ZN9rocsparseL29bsrmmnt_small_blockdim_kernelILj64ELj32ELj2EliffffEEv20rocsparse_direction_T3_S2_llNS_24const_host_device_scalarIT7_EEPKT2_PKS2_PKT4_PKT5_llS5_PT6_ll16rocsparse_order_21rocsparse_index_base_b.has_dyn_sized_stack, 0
	.set _ZN9rocsparseL29bsrmmnt_small_blockdim_kernelILj64ELj32ELj2EliffffEEv20rocsparse_direction_T3_S2_llNS_24const_host_device_scalarIT7_EEPKT2_PKS2_PKT4_PKT5_llS5_PT6_ll16rocsparse_order_21rocsparse_index_base_b.has_recursion, 0
	.set _ZN9rocsparseL29bsrmmnt_small_blockdim_kernelILj64ELj32ELj2EliffffEEv20rocsparse_direction_T3_S2_llNS_24const_host_device_scalarIT7_EEPKT2_PKS2_PKT4_PKT5_llS5_PT6_ll16rocsparse_order_21rocsparse_index_base_b.has_indirect_call, 0
	.section	.AMDGPU.csdata,"",@progbits
; Kernel info:
; codeLenInByte = 1400
; TotalNumSgprs: 36
; NumVgprs: 30
; ScratchSize: 0
; MemoryBound: 0
; FloatMode: 240
; IeeeMode: 1
; LDSByteSize: 1024 bytes/workgroup (compile time only)
; SGPRBlocks: 4
; VGPRBlocks: 7
; NumSGPRsForWavesPerEU: 36
; NumVGPRsForWavesPerEU: 30
; Occupancy: 8
; WaveLimiterHint : 0
; COMPUTE_PGM_RSRC2:SCRATCH_EN: 0
; COMPUTE_PGM_RSRC2:USER_SGPR: 6
; COMPUTE_PGM_RSRC2:TRAP_HANDLER: 0
; COMPUTE_PGM_RSRC2:TGID_X_EN: 1
; COMPUTE_PGM_RSRC2:TGID_Y_EN: 0
; COMPUTE_PGM_RSRC2:TGID_Z_EN: 0
; COMPUTE_PGM_RSRC2:TIDIG_COMP_CNT: 0
	.section	.text._ZN9rocsparseL29bsrmmnt_small_blockdim_kernelILj64ELj64ELj2EliffffEEv20rocsparse_direction_T3_S2_llNS_24const_host_device_scalarIT7_EEPKT2_PKS2_PKT4_PKT5_llS5_PT6_ll16rocsparse_order_21rocsparse_index_base_b,"axG",@progbits,_ZN9rocsparseL29bsrmmnt_small_blockdim_kernelILj64ELj64ELj2EliffffEEv20rocsparse_direction_T3_S2_llNS_24const_host_device_scalarIT7_EEPKT2_PKS2_PKT4_PKT5_llS5_PT6_ll16rocsparse_order_21rocsparse_index_base_b,comdat
	.globl	_ZN9rocsparseL29bsrmmnt_small_blockdim_kernelILj64ELj64ELj2EliffffEEv20rocsparse_direction_T3_S2_llNS_24const_host_device_scalarIT7_EEPKT2_PKS2_PKT4_PKT5_llS5_PT6_ll16rocsparse_order_21rocsparse_index_base_b ; -- Begin function _ZN9rocsparseL29bsrmmnt_small_blockdim_kernelILj64ELj64ELj2EliffffEEv20rocsparse_direction_T3_S2_llNS_24const_host_device_scalarIT7_EEPKT2_PKS2_PKT4_PKT5_llS5_PT6_ll16rocsparse_order_21rocsparse_index_base_b
	.p2align	8
	.type	_ZN9rocsparseL29bsrmmnt_small_blockdim_kernelILj64ELj64ELj2EliffffEEv20rocsparse_direction_T3_S2_llNS_24const_host_device_scalarIT7_EEPKT2_PKS2_PKT4_PKT5_llS5_PT6_ll16rocsparse_order_21rocsparse_index_base_b,@function
_ZN9rocsparseL29bsrmmnt_small_blockdim_kernelILj64ELj64ELj2EliffffEEv20rocsparse_direction_T3_S2_llNS_24const_host_device_scalarIT7_EEPKT2_PKS2_PKT4_PKT5_llS5_PT6_ll16rocsparse_order_21rocsparse_index_base_b: ; @_ZN9rocsparseL29bsrmmnt_small_blockdim_kernelILj64ELj64ELj2EliffffEEv20rocsparse_direction_T3_S2_llNS_24const_host_device_scalarIT7_EEPKT2_PKS2_PKT4_PKT5_llS5_PT6_ll16rocsparse_order_21rocsparse_index_base_b
; %bb.0:
	s_load_dwordx4 s[16:19], s[4:5], 0x78
	s_load_dwordx2 s[28:29], s[4:5], 0x20
	s_load_dwordx2 s[30:31], s[4:5], 0x58
	s_waitcnt lgkmcnt(0)
	s_bitcmp1_b32 s18, 0
	s_cselect_b64 s[2:3], -1, 0
	s_xor_b64 s[0:1], s[2:3], -1
	s_and_b64 vcc, exec, s[2:3]
	s_cbranch_vccnz .LBB28_2
; %bb.1:
	s_load_dword s28, s[28:29], 0x0
.LBB28_2:
	s_andn2_b64 vcc, exec, s[0:1]
	s_cbranch_vccnz .LBB28_4
; %bb.3:
	s_load_dword s30, s[30:31], 0x0
.LBB28_4:
	s_waitcnt lgkmcnt(0)
	v_cmp_eq_f32_e64 s[0:1], s28, 0
	v_cmp_eq_f32_e64 s[2:3], s30, 1.0
	s_and_b64 s[0:1], s[0:1], s[2:3]
	s_and_b64 vcc, exec, s[0:1]
	s_cbranch_vccnz .LBB28_30
; %bb.5:
	s_load_dword s0, s[4:5], 0x94
	s_load_dwordx4 s[20:23], s[4:5], 0x0
	s_waitcnt lgkmcnt(0)
	s_and_b32 s0, s0, 0xffff
	s_mul_i32 s6, s6, s0
	v_add_u32_e32 v1, s6, v0
	v_lshrrev_b32_e32 v2, 7, v1
	v_cmp_gt_i32_e32 vcc, s21, v2
	s_and_saveexec_b64 s[0:1], vcc
	s_cbranch_execz .LBB28_30
; %bb.6:
	s_cmp_lt_i32 s22, 1
	s_cbranch_scc1 .LBB28_30
; %bb.7:
	s_load_dwordx8 s[8:15], s[4:5], 0x28
	v_lshlrev_b32_e32 v2, 3, v2
	s_cmp_lg_u32 s16, 1
	v_lshrrev_b32_e32 v3, 6, v1
	v_bfe_u32 v1, v1, 6, 1
	s_waitcnt lgkmcnt(0)
	global_load_dwordx4 v[5:8], v2, s[8:9]
	s_load_dwordx4 s[24:27], s[4:5], 0x60
	s_load_dwordx2 s[6:7], s[4:5], 0x48
	s_cselect_b64 s[8:9], -1, 0
	s_cmp_eq_u32 s20, 0
	s_cselect_b64 s[2:3], -1, 0
	v_cndmask_b32_e64 v2, 0, 1, s[2:3]
	v_lshlrev_b32_e32 v1, v2, v1
	v_lshlrev_b32_e32 v9, 2, v1
	s_waitcnt lgkmcnt(0)
	v_mad_u64_u32 v[1:2], s[0:1], s26, v3, 0
	v_lshlrev_b32_e32 v4, 2, v3
	v_mov_b32_e32 v14, s25
	v_mad_u64_u32 v[2:3], s[0:1], s27, v3, v[2:3]
	v_add_co_u32_e32 v13, vcc, s24, v4
	v_addc_co_u32_e32 v14, vcc, 0, v14, vcc
	v_mov_b32_e32 v16, s13
	v_add_co_u32_e32 v15, vcc, s12, v9
	v_lshlrev_b64 v[1:2], 2, v[1:2]
	v_addc_co_u32_e32 v16, vcc, 0, v16, vcc
	v_mov_b32_e32 v10, s25
	v_add_co_u32_e32 v17, vcc, s24, v1
	v_addc_co_u32_e32 v18, vcc, v10, v2, vcc
	v_mov_b32_e32 v11, 0x300
	s_and_b64 s[2:3], s[2:3], exec
	s_mov_b32 s23, 0
	v_cmp_neq_f32_e64 s[4:5], s30, 0
	v_lshl_or_b32 v12, v0, 2, v11
	s_cselect_b32 s16, 4, 8
	s_waitcnt vmcnt(0)
	v_subrev_co_u32_e32 v1, vcc, s17, v5
	v_subbrev_co_u32_e32 v2, vcc, 0, v6, vcc
	v_subrev_co_u32_e32 v3, vcc, s17, v7
	v_cmp_lt_i64_e64 s[0:1], v[5:6], v[7:8]
	v_subbrev_co_u32_e32 v4, vcc, 0, v8, vcc
	s_branch .LBB28_9
.LBB28_8:                               ;   in Loop: Header=BB28_9 Depth=1
	s_or_b64 exec, exec, s[2:3]
	s_add_i32 s23, s23, 64
	s_cmp_lt_i32 s23, s22
	s_cbranch_scc0 .LBB28_30
.LBB28_9:                               ; =>This Loop Header: Depth=1
                                        ;     Child Loop BB28_12 Depth 2
                                        ;       Child Loop BB28_16 Depth 3
	v_or_b32_e32 v5, s23, v0
	v_ashrrev_i32_e32 v6, 31, v5
	v_mov_b32_e32 v19, 0
	s_and_saveexec_b64 s[12:13], s[0:1]
	s_cbranch_execz .LBB28_18
; %bb.10:                               ;   in Loop: Header=BB28_9 Depth=1
	v_lshlrev_b64 v[7:8], 2, v[5:6]
	v_mov_b32_e32 v9, s15
	v_add_co_u32_e64 v20, s[2:3], s14, v7
	v_addc_co_u32_e64 v21, s[2:3], v9, v8, s[2:3]
	v_mov_b32_e32 v8, v2
	v_cmp_gt_i32_e32 vcc, s22, v5
	v_mov_b32_e32 v19, 0
	s_mov_b64 s[18:19], 0
	v_mov_b32_e32 v7, v1
	s_branch .LBB28_12
.LBB28_11:                              ;   in Loop: Header=BB28_12 Depth=2
	s_or_b64 exec, exec, s[20:21]
	v_add_co_u32_e64 v7, s[2:3], 64, v7
	v_addc_co_u32_e64 v8, s[2:3], 0, v8, s[2:3]
	v_cmp_ge_i64_e64 s[2:3], v[7:8], v[3:4]
	s_or_b64 s[18:19], s[2:3], s[18:19]
	s_andn2_b64 exec, exec, s[18:19]
	s_cbranch_execz .LBB28_17
.LBB28_12:                              ;   Parent Loop BB28_9 Depth=1
                                        ; =>  This Loop Header: Depth=2
                                        ;       Child Loop BB28_16 Depth 3
	v_add_co_u32_e64 v9, s[2:3], v7, v0
	v_addc_co_u32_e64 v10, s[2:3], 0, v8, s[2:3]
	v_cmp_lt_i64_e64 s[2:3], v[9:10], v[3:4]
	v_mov_b32_e32 v24, 0
	v_mov_b32_e32 v22, 0
	;; [unrolled: 1-line block ×3, first 2 shown]
	s_and_saveexec_b64 s[20:21], s[2:3]
	s_cbranch_execz .LBB28_14
; %bb.13:                               ;   in Loop: Header=BB28_12 Depth=2
	v_lshlrev_b64 v[22:23], 2, v[9:10]
	v_mov_b32_e32 v24, s11
	v_add_co_u32_e64 v22, s[2:3], s10, v22
	v_lshlrev_b64 v[9:10], 4, v[9:10]
	v_addc_co_u32_e64 v23, s[2:3], v24, v23, s[2:3]
	v_add_co_u32_e64 v9, s[2:3], v15, v9
	global_load_dword v26, v[22:23], off
	v_addc_co_u32_e64 v10, s[2:3], v16, v10, s[2:3]
	v_add_co_u32_e64 v24, s[2:3], s16, v9
	v_addc_co_u32_e64 v25, s[2:3], 0, v10, s[2:3]
	global_load_dword v22, v[9:10], off
	global_load_dword v23, v[24:25], off
	s_waitcnt vmcnt(2)
	v_subrev_u32_e32 v9, s17, v26
	v_lshlrev_b32_e32 v24, 1, v9
.LBB28_14:                              ;   in Loop: Header=BB28_12 Depth=2
	s_or_b64 exec, exec, s[20:21]
	v_mul_u32_u24_e32 v9, 12, v0
	ds_write_b32 v12, v24
	s_waitcnt vmcnt(0)
	ds_write2_b32 v9, v22, v23 offset1:1
	s_waitcnt lgkmcnt(0)
	; wave barrier
	s_and_saveexec_b64 s[20:21], vcc
	s_cbranch_execz .LBB28_11
; %bb.15:                               ;   in Loop: Header=BB28_12 Depth=2
	s_mov_b32 s24, 0
	v_mov_b32_e32 v9, 0
.LBB28_16:                              ;   Parent Loop BB28_9 Depth=1
                                        ;     Parent Loop BB28_12 Depth=2
                                        ; =>    This Inner Loop Header: Depth=3
	v_add_u32_e32 v10, s24, v11
	ds_read_b64 v[22:23], v10
	s_add_i32 s24, s24, 8
	s_cmpk_lg_i32 s24, 0x100
	s_waitcnt lgkmcnt(0)
	v_ashrrev_i32_e32 v10, 31, v22
	v_mul_lo_u32 v10, s6, v10
	v_mul_lo_u32 v26, s7, v22
	v_mad_u64_u32 v[24:25], s[2:3], s6, v22, 0
	v_add3_u32 v25, v25, v10, v26
	v_lshlrev_b64 v[24:25], 2, v[24:25]
	v_add_co_u32_e64 v24, s[2:3], v20, v24
	v_addc_co_u32_e64 v25, s[2:3], v21, v25, s[2:3]
	global_load_dword v10, v[24:25], off
	ds_read_b64 v[24:25], v9
	s_waitcnt vmcnt(0) lgkmcnt(0)
	v_fmac_f32_e32 v19, v24, v10
	v_add_u32_e32 v10, 1, v22
	v_ashrrev_i32_e32 v22, 31, v10
	v_mul_lo_u32 v22, s6, v22
	v_mul_lo_u32 v24, s7, v10
	v_mad_u64_u32 v[26:27], s[2:3], s6, v10, 0
	v_add3_u32 v27, v27, v22, v24
	v_lshlrev_b64 v[26:27], 2, v[26:27]
	v_mul_lo_u32 v22, s7, v23
	v_add_co_u32_e64 v26, s[2:3], v20, v26
	v_addc_co_u32_e64 v27, s[2:3], v21, v27, s[2:3]
	global_load_dword v10, v[26:27], off
	s_waitcnt vmcnt(0)
	v_fmac_f32_e32 v19, v25, v10
	v_ashrrev_i32_e32 v10, 31, v23
	v_mul_lo_u32 v10, s6, v10
	v_mad_u64_u32 v[24:25], s[2:3], s6, v23, 0
	v_add3_u32 v25, v25, v10, v22
	v_lshlrev_b64 v[24:25], 2, v[24:25]
	v_add_co_u32_e64 v24, s[2:3], v20, v24
	v_addc_co_u32_e64 v25, s[2:3], v21, v25, s[2:3]
	global_load_dword v10, v[24:25], off
	ds_read2_b32 v[24:25], v9 offset0:3 offset1:4
	v_add_u32_e32 v9, 24, v9
	s_waitcnt vmcnt(0) lgkmcnt(0)
	v_fmac_f32_e32 v19, v24, v10
	v_add_u32_e32 v10, 1, v23
	v_ashrrev_i32_e32 v22, 31, v10
	v_mul_lo_u32 v24, s6, v22
	v_mul_lo_u32 v26, s7, v10
	v_mad_u64_u32 v[22:23], s[2:3], s6, v10, 0
	v_add3_u32 v23, v23, v24, v26
	v_lshlrev_b64 v[22:23], 2, v[22:23]
	v_add_co_u32_e64 v22, s[2:3], v20, v22
	v_addc_co_u32_e64 v23, s[2:3], v21, v23, s[2:3]
	global_load_dword v10, v[22:23], off
	s_waitcnt vmcnt(0)
	v_fmac_f32_e32 v19, v25, v10
	s_cbranch_scc1 .LBB28_16
	s_branch .LBB28_11
.LBB28_17:                              ;   in Loop: Header=BB28_9 Depth=1
	s_or_b64 exec, exec, s[18:19]
.LBB28_18:                              ;   in Loop: Header=BB28_9 Depth=1
	s_or_b64 exec, exec, s[12:13]
	v_cmp_gt_i32_e32 vcc, s22, v5
	s_and_saveexec_b64 s[2:3], vcc
	s_cbranch_execz .LBB28_8
; %bb.19:                               ;   in Loop: Header=BB28_9 Depth=1
	s_mov_b64 s[12:13], -1
	s_and_b64 vcc, exec, s[4:5]
	s_cbranch_vccz .LBB28_25
; %bb.20:                               ;   in Loop: Header=BB28_9 Depth=1
	s_and_b64 vcc, exec, s[8:9]
	s_cbranch_vccz .LBB28_22
; %bb.21:                               ;   in Loop: Header=BB28_9 Depth=1
	v_lshlrev_b64 v[7:8], 2, v[5:6]
	v_mul_f32_e32 v10, s28, v19
	v_add_co_u32_e32 v7, vcc, v17, v7
	v_addc_co_u32_e32 v8, vcc, v18, v8, vcc
	global_load_dword v9, v[7:8], off
	s_mov_b64 s[12:13], 0
	s_waitcnt vmcnt(0)
	v_fmac_f32_e32 v10, s30, v9
	global_store_dword v[7:8], v10, off
.LBB28_22:                              ;   in Loop: Header=BB28_9 Depth=1
	s_andn2_b64 vcc, exec, s[12:13]
	s_cbranch_vccnz .LBB28_24
; %bb.23:                               ;   in Loop: Header=BB28_9 Depth=1
	v_mul_lo_u32 v9, s27, v5
	v_mul_lo_u32 v10, s26, v6
	v_mad_u64_u32 v[7:8], s[12:13], s26, v5, 0
	v_add3_u32 v8, v8, v10, v9
	v_lshlrev_b64 v[7:8], 2, v[7:8]
	v_mul_f32_e32 v10, s28, v19
	v_add_co_u32_e32 v7, vcc, v13, v7
	v_addc_co_u32_e32 v8, vcc, v14, v8, vcc
	global_load_dword v9, v[7:8], off
	s_waitcnt vmcnt(0)
	v_fmac_f32_e32 v10, s30, v9
	global_store_dword v[7:8], v10, off
.LBB28_24:                              ;   in Loop: Header=BB28_9 Depth=1
	s_mov_b64 s[12:13], 0
.LBB28_25:                              ;   in Loop: Header=BB28_9 Depth=1
	s_andn2_b64 vcc, exec, s[12:13]
	s_cbranch_vccnz .LBB28_8
; %bb.26:                               ;   in Loop: Header=BB28_9 Depth=1
	v_mul_f32_e32 v7, s28, v19
	s_mov_b64 s[12:13], -1
	s_and_b64 vcc, exec, s[8:9]
	s_cbranch_vccz .LBB28_28
; %bb.27:                               ;   in Loop: Header=BB28_9 Depth=1
	v_lshlrev_b64 v[8:9], 2, v[5:6]
	s_mov_b64 s[12:13], 0
	v_add_co_u32_e32 v8, vcc, v17, v8
	v_addc_co_u32_e32 v9, vcc, v18, v9, vcc
	global_store_dword v[8:9], v7, off
.LBB28_28:                              ;   in Loop: Header=BB28_9 Depth=1
	s_andn2_b64 vcc, exec, s[12:13]
	s_cbranch_vccnz .LBB28_8
; %bb.29:                               ;   in Loop: Header=BB28_9 Depth=1
	v_mul_lo_u32 v8, s27, v5
	v_mul_lo_u32 v9, s26, v6
	v_mad_u64_u32 v[5:6], s[12:13], s26, v5, 0
	v_add3_u32 v6, v6, v9, v8
	v_lshlrev_b64 v[5:6], 2, v[5:6]
	v_add_co_u32_e32 v5, vcc, v13, v5
	v_addc_co_u32_e32 v6, vcc, v14, v6, vcc
	global_store_dword v[5:6], v7, off
	s_branch .LBB28_8
.LBB28_30:
	s_endpgm
	.section	.rodata,"a",@progbits
	.p2align	6, 0x0
	.amdhsa_kernel _ZN9rocsparseL29bsrmmnt_small_blockdim_kernelILj64ELj64ELj2EliffffEEv20rocsparse_direction_T3_S2_llNS_24const_host_device_scalarIT7_EEPKT2_PKS2_PKT4_PKT5_llS5_PT6_ll16rocsparse_order_21rocsparse_index_base_b
		.amdhsa_group_segment_fixed_size 1024
		.amdhsa_private_segment_fixed_size 0
		.amdhsa_kernarg_size 392
		.amdhsa_user_sgpr_count 6
		.amdhsa_user_sgpr_private_segment_buffer 1
		.amdhsa_user_sgpr_dispatch_ptr 0
		.amdhsa_user_sgpr_queue_ptr 0
		.amdhsa_user_sgpr_kernarg_segment_ptr 1
		.amdhsa_user_sgpr_dispatch_id 0
		.amdhsa_user_sgpr_flat_scratch_init 0
		.amdhsa_user_sgpr_private_segment_size 0
		.amdhsa_uses_dynamic_stack 0
		.amdhsa_system_sgpr_private_segment_wavefront_offset 0
		.amdhsa_system_sgpr_workgroup_id_x 1
		.amdhsa_system_sgpr_workgroup_id_y 0
		.amdhsa_system_sgpr_workgroup_id_z 0
		.amdhsa_system_sgpr_workgroup_info 0
		.amdhsa_system_vgpr_workitem_id 0
		.amdhsa_next_free_vgpr 28
		.amdhsa_next_free_sgpr 32
		.amdhsa_reserve_vcc 1
		.amdhsa_reserve_flat_scratch 0
		.amdhsa_float_round_mode_32 0
		.amdhsa_float_round_mode_16_64 0
		.amdhsa_float_denorm_mode_32 3
		.amdhsa_float_denorm_mode_16_64 3
		.amdhsa_dx10_clamp 1
		.amdhsa_ieee_mode 1
		.amdhsa_fp16_overflow 0
		.amdhsa_exception_fp_ieee_invalid_op 0
		.amdhsa_exception_fp_denorm_src 0
		.amdhsa_exception_fp_ieee_div_zero 0
		.amdhsa_exception_fp_ieee_overflow 0
		.amdhsa_exception_fp_ieee_underflow 0
		.amdhsa_exception_fp_ieee_inexact 0
		.amdhsa_exception_int_div_zero 0
	.end_amdhsa_kernel
	.section	.text._ZN9rocsparseL29bsrmmnt_small_blockdim_kernelILj64ELj64ELj2EliffffEEv20rocsparse_direction_T3_S2_llNS_24const_host_device_scalarIT7_EEPKT2_PKS2_PKT4_PKT5_llS5_PT6_ll16rocsparse_order_21rocsparse_index_base_b,"axG",@progbits,_ZN9rocsparseL29bsrmmnt_small_blockdim_kernelILj64ELj64ELj2EliffffEEv20rocsparse_direction_T3_S2_llNS_24const_host_device_scalarIT7_EEPKT2_PKS2_PKT4_PKT5_llS5_PT6_ll16rocsparse_order_21rocsparse_index_base_b,comdat
.Lfunc_end28:
	.size	_ZN9rocsparseL29bsrmmnt_small_blockdim_kernelILj64ELj64ELj2EliffffEEv20rocsparse_direction_T3_S2_llNS_24const_host_device_scalarIT7_EEPKT2_PKS2_PKT4_PKT5_llS5_PT6_ll16rocsparse_order_21rocsparse_index_base_b, .Lfunc_end28-_ZN9rocsparseL29bsrmmnt_small_blockdim_kernelILj64ELj64ELj2EliffffEEv20rocsparse_direction_T3_S2_llNS_24const_host_device_scalarIT7_EEPKT2_PKS2_PKT4_PKT5_llS5_PT6_ll16rocsparse_order_21rocsparse_index_base_b
                                        ; -- End function
	.set _ZN9rocsparseL29bsrmmnt_small_blockdim_kernelILj64ELj64ELj2EliffffEEv20rocsparse_direction_T3_S2_llNS_24const_host_device_scalarIT7_EEPKT2_PKS2_PKT4_PKT5_llS5_PT6_ll16rocsparse_order_21rocsparse_index_base_b.num_vgpr, 28
	.set _ZN9rocsparseL29bsrmmnt_small_blockdim_kernelILj64ELj64ELj2EliffffEEv20rocsparse_direction_T3_S2_llNS_24const_host_device_scalarIT7_EEPKT2_PKS2_PKT4_PKT5_llS5_PT6_ll16rocsparse_order_21rocsparse_index_base_b.num_agpr, 0
	.set _ZN9rocsparseL29bsrmmnt_small_blockdim_kernelILj64ELj64ELj2EliffffEEv20rocsparse_direction_T3_S2_llNS_24const_host_device_scalarIT7_EEPKT2_PKS2_PKT4_PKT5_llS5_PT6_ll16rocsparse_order_21rocsparse_index_base_b.numbered_sgpr, 32
	.set _ZN9rocsparseL29bsrmmnt_small_blockdim_kernelILj64ELj64ELj2EliffffEEv20rocsparse_direction_T3_S2_llNS_24const_host_device_scalarIT7_EEPKT2_PKS2_PKT4_PKT5_llS5_PT6_ll16rocsparse_order_21rocsparse_index_base_b.num_named_barrier, 0
	.set _ZN9rocsparseL29bsrmmnt_small_blockdim_kernelILj64ELj64ELj2EliffffEEv20rocsparse_direction_T3_S2_llNS_24const_host_device_scalarIT7_EEPKT2_PKS2_PKT4_PKT5_llS5_PT6_ll16rocsparse_order_21rocsparse_index_base_b.private_seg_size, 0
	.set _ZN9rocsparseL29bsrmmnt_small_blockdim_kernelILj64ELj64ELj2EliffffEEv20rocsparse_direction_T3_S2_llNS_24const_host_device_scalarIT7_EEPKT2_PKS2_PKT4_PKT5_llS5_PT6_ll16rocsparse_order_21rocsparse_index_base_b.uses_vcc, 1
	.set _ZN9rocsparseL29bsrmmnt_small_blockdim_kernelILj64ELj64ELj2EliffffEEv20rocsparse_direction_T3_S2_llNS_24const_host_device_scalarIT7_EEPKT2_PKS2_PKT4_PKT5_llS5_PT6_ll16rocsparse_order_21rocsparse_index_base_b.uses_flat_scratch, 0
	.set _ZN9rocsparseL29bsrmmnt_small_blockdim_kernelILj64ELj64ELj2EliffffEEv20rocsparse_direction_T3_S2_llNS_24const_host_device_scalarIT7_EEPKT2_PKS2_PKT4_PKT5_llS5_PT6_ll16rocsparse_order_21rocsparse_index_base_b.has_dyn_sized_stack, 0
	.set _ZN9rocsparseL29bsrmmnt_small_blockdim_kernelILj64ELj64ELj2EliffffEEv20rocsparse_direction_T3_S2_llNS_24const_host_device_scalarIT7_EEPKT2_PKS2_PKT4_PKT5_llS5_PT6_ll16rocsparse_order_21rocsparse_index_base_b.has_recursion, 0
	.set _ZN9rocsparseL29bsrmmnt_small_blockdim_kernelILj64ELj64ELj2EliffffEEv20rocsparse_direction_T3_S2_llNS_24const_host_device_scalarIT7_EEPKT2_PKS2_PKT4_PKT5_llS5_PT6_ll16rocsparse_order_21rocsparse_index_base_b.has_indirect_call, 0
	.section	.AMDGPU.csdata,"",@progbits
; Kernel info:
; codeLenInByte = 1372
; TotalNumSgprs: 36
; NumVgprs: 28
; ScratchSize: 0
; MemoryBound: 0
; FloatMode: 240
; IeeeMode: 1
; LDSByteSize: 1024 bytes/workgroup (compile time only)
; SGPRBlocks: 4
; VGPRBlocks: 6
; NumSGPRsForWavesPerEU: 36
; NumVGPRsForWavesPerEU: 28
; Occupancy: 9
; WaveLimiterHint : 0
; COMPUTE_PGM_RSRC2:SCRATCH_EN: 0
; COMPUTE_PGM_RSRC2:USER_SGPR: 6
; COMPUTE_PGM_RSRC2:TRAP_HANDLER: 0
; COMPUTE_PGM_RSRC2:TGID_X_EN: 1
; COMPUTE_PGM_RSRC2:TGID_Y_EN: 0
; COMPUTE_PGM_RSRC2:TGID_Z_EN: 0
; COMPUTE_PGM_RSRC2:TIDIG_COMP_CNT: 0
	.section	.text._ZN9rocsparseL29bsrmmnt_small_blockdim_kernelILj64ELj8ELj2EllffffEEv20rocsparse_direction_T3_S2_llNS_24const_host_device_scalarIT7_EEPKT2_PKS2_PKT4_PKT5_llS5_PT6_ll16rocsparse_order_21rocsparse_index_base_b,"axG",@progbits,_ZN9rocsparseL29bsrmmnt_small_blockdim_kernelILj64ELj8ELj2EllffffEEv20rocsparse_direction_T3_S2_llNS_24const_host_device_scalarIT7_EEPKT2_PKS2_PKT4_PKT5_llS5_PT6_ll16rocsparse_order_21rocsparse_index_base_b,comdat
	.globl	_ZN9rocsparseL29bsrmmnt_small_blockdim_kernelILj64ELj8ELj2EllffffEEv20rocsparse_direction_T3_S2_llNS_24const_host_device_scalarIT7_EEPKT2_PKS2_PKT4_PKT5_llS5_PT6_ll16rocsparse_order_21rocsparse_index_base_b ; -- Begin function _ZN9rocsparseL29bsrmmnt_small_blockdim_kernelILj64ELj8ELj2EllffffEEv20rocsparse_direction_T3_S2_llNS_24const_host_device_scalarIT7_EEPKT2_PKS2_PKT4_PKT5_llS5_PT6_ll16rocsparse_order_21rocsparse_index_base_b
	.p2align	8
	.type	_ZN9rocsparseL29bsrmmnt_small_blockdim_kernelILj64ELj8ELj2EllffffEEv20rocsparse_direction_T3_S2_llNS_24const_host_device_scalarIT7_EEPKT2_PKS2_PKT4_PKT5_llS5_PT6_ll16rocsparse_order_21rocsparse_index_base_b,@function
_ZN9rocsparseL29bsrmmnt_small_blockdim_kernelILj64ELj8ELj2EllffffEEv20rocsparse_direction_T3_S2_llNS_24const_host_device_scalarIT7_EEPKT2_PKS2_PKT4_PKT5_llS5_PT6_ll16rocsparse_order_21rocsparse_index_base_b: ; @_ZN9rocsparseL29bsrmmnt_small_blockdim_kernelILj64ELj8ELj2EllffffEEv20rocsparse_direction_T3_S2_llNS_24const_host_device_scalarIT7_EEPKT2_PKS2_PKT4_PKT5_llS5_PT6_ll16rocsparse_order_21rocsparse_index_base_b
; %bb.0:
	s_load_dwordx4 s[0:3], s[4:5], 0x80
	s_load_dwordx2 s[24:25], s[4:5], 0x28
	s_load_dwordx2 s[26:27], s[4:5], 0x60
	s_waitcnt lgkmcnt(0)
	s_bitcmp1_b32 s2, 0
	s_cselect_b64 s[8:9], -1, 0
	s_xor_b64 s[2:3], s[8:9], -1
	s_and_b64 vcc, exec, s[8:9]
	s_cbranch_vccnz .LBB29_2
; %bb.1:
	s_load_dword s24, s[24:25], 0x0
.LBB29_2:
	s_andn2_b64 vcc, exec, s[2:3]
	s_cbranch_vccnz .LBB29_4
; %bb.3:
	s_load_dword s26, s[26:27], 0x0
.LBB29_4:
	s_waitcnt lgkmcnt(0)
	v_cmp_eq_f32_e64 s[2:3], s24, 0
	v_cmp_eq_f32_e64 s[8:9], s26, 1.0
	s_and_b64 s[2:3], s[2:3], s[8:9]
	s_and_b64 vcc, exec, s[2:3]
	s_cbranch_vccnz .LBB29_30
; %bb.5:
	s_load_dword s2, s[4:5], 0x9c
	s_load_dwordx4 s[16:19], s[4:5], 0x8
	v_mov_b32_e32 v2, 0
	s_waitcnt lgkmcnt(0)
	s_and_b32 s2, s2, 0xffff
	s_mul_i32 s6, s6, s2
	v_add_u32_e32 v3, s6, v0
	v_lshrrev_b32_e32 v1, 4, v3
	v_cmp_gt_i64_e32 vcc, s[16:17], v[1:2]
	s_and_saveexec_b64 s[2:3], vcc
	s_cbranch_execz .LBB29_30
; %bb.6:
	v_cmp_lt_i64_e64 s[2:3], s[18:19], 1
	s_and_b64 vcc, exec, s[2:3]
	s_cbranch_vccnz .LBB29_30
; %bb.7:
	s_load_dwordx8 s[8:15], s[4:5], 0x30
	v_lshlrev_b32_e32 v1, 3, v1
	v_lshrrev_b32_e32 v2, 3, v3
	v_and_b32_e32 v12, 7, v0
	v_lshrrev_b32_e32 v0, 3, v0
	s_waitcnt lgkmcnt(0)
	global_load_dwordx4 v[4:7], v1, s[8:9]
	s_load_dword s2, s[4:5], 0x0
	s_load_dwordx4 s[20:23], s[4:5], 0x68
	s_load_dwordx2 s[6:7], s[4:5], 0x50
	v_mov_b32_e32 v1, 0x300
	s_cmp_lg_u32 s0, 1
	v_lshl_add_u32 v13, v0, 6, v1
	s_cselect_b64 s[8:9], -1, 0
	v_mul_u32_u24_e32 v14, 0x60, v0
	s_waitcnt lgkmcnt(0)
	s_cmp_eq_u32 s2, 0
	v_mad_u64_u32 v[0:1], s[2:3], v2, s22, 0
	v_lshlrev_b32_e32 v3, 2, v2
	v_and_b32_e32 v9, 4, v3
	v_mov_b32_e32 v10, s13
	v_add_co_u32_e32 v18, vcc, s12, v9
	v_addc_co_u32_e32 v10, vcc, 0, v10, vcc
	v_mad_u64_u32 v[1:2], s[2:3], v2, s23, v[1:2]
	v_mov_b32_e32 v16, s21
	v_add_co_u32_e32 v15, vcc, s20, v3
	v_addc_co_u32_e32 v16, vcc, 0, v16, vcc
	v_add_co_u32_e32 v3, vcc, v18, v9
	v_addc_co_u32_e32 v9, vcc, 0, v10, vcc
	v_lshlrev_b64 v[0:1], 2, v[0:1]
	s_cselect_b64 vcc, -1, 0
	v_mov_b32_e32 v11, s21
	v_cndmask_b32_e32 v17, v10, v9, vcc
	v_cndmask_b32_e32 v18, v18, v3, vcc
	s_and_b64 s[2:3], vcc, exec
	v_add_co_u32_e32 v19, vcc, s20, v0
	v_addc_co_u32_e32 v20, vcc, v11, v1, vcc
	s_mov_b32 s25, s1
	v_mul_u32_u24_e32 v8, 12, v12
	v_cmp_neq_f32_e64 s[4:5], s26, 0
	s_cselect_b32 s27, 4, 8
	s_mov_b64 s[12:13], 0
	v_add_u32_e32 v21, v14, v8
	s_waitcnt vmcnt(0)
	v_subrev_co_u32_e32 v0, vcc, s1, v4
	v_subbrev_co_u32_e32 v1, vcc, 0, v5, vcc
	v_subrev_co_u32_e32 v2, vcc, s1, v6
	v_cmp_lt_i64_e64 s[0:1], v[4:5], v[6:7]
	v_subbrev_co_u32_e32 v3, vcc, 0, v7, vcc
	s_branch .LBB29_9
.LBB29_8:                               ;   in Loop: Header=BB29_9 Depth=1
	s_or_b64 exec, exec, s[2:3]
	s_add_u32 s12, s12, 8
	v_mov_b32_e32 v4, s18
	s_addc_u32 s13, s13, 0
	v_mov_b32_e32 v5, s19
	v_cmp_lt_i64_e32 vcc, s[12:13], v[4:5]
	s_cbranch_vccz .LBB29_30
.LBB29_9:                               ; =>This Loop Header: Depth=1
                                        ;     Child Loop BB29_12 Depth 2
                                        ;       Child Loop BB29_16 Depth 3
	v_mov_b32_e32 v5, s13
	v_or_b32_e32 v4, s12, v12
	v_mov_b32_e32 v22, 0
	s_and_saveexec_b64 s[16:17], s[0:1]
	s_cbranch_execz .LBB29_18
; %bb.10:                               ;   in Loop: Header=BB29_9 Depth=1
	v_lshlrev_b64 v[6:7], 2, v[4:5]
	v_mov_b32_e32 v8, s15
	v_add_co_u32_e64 v23, s[2:3], s14, v6
	v_cmp_gt_i64_e32 vcc, s[18:19], v[4:5]
	v_addc_co_u32_e64 v24, s[2:3], v8, v7, s[2:3]
	v_mov_b32_e32 v7, v1
	v_mov_b32_e32 v22, 0
	s_mov_b64 s[20:21], 0
	v_mov_b32_e32 v6, v0
	s_branch .LBB29_12
.LBB29_11:                              ;   in Loop: Header=BB29_12 Depth=2
	s_or_b64 exec, exec, s[28:29]
	v_add_co_u32_e64 v6, s[2:3], 8, v6
	v_addc_co_u32_e64 v7, s[2:3], 0, v7, s[2:3]
	v_cmp_ge_i64_e64 s[2:3], v[6:7], v[2:3]
	s_or_b64 s[20:21], s[2:3], s[20:21]
	s_andn2_b64 exec, exec, s[20:21]
	s_cbranch_execz .LBB29_17
.LBB29_12:                              ;   Parent Loop BB29_9 Depth=1
                                        ; =>  This Loop Header: Depth=2
                                        ;       Child Loop BB29_16 Depth 3
	v_add_co_u32_e64 v8, s[2:3], v6, v12
	v_addc_co_u32_e64 v9, s[2:3], 0, v7, s[2:3]
	v_cmp_lt_i64_e64 s[2:3], v[8:9], v[2:3]
	v_mov_b32_e32 v10, 0
	v_mov_b32_e32 v11, 0
	;; [unrolled: 1-line block ×4, first 2 shown]
	s_and_saveexec_b64 s[28:29], s[2:3]
	s_cbranch_execz .LBB29_14
; %bb.13:                               ;   in Loop: Header=BB29_12 Depth=2
	v_lshlrev_b64 v[10:11], 3, v[8:9]
	v_mov_b32_e32 v25, s11
	v_add_co_u32_e64 v10, s[2:3], s10, v10
	v_addc_co_u32_e64 v11, s[2:3], v25, v11, s[2:3]
	v_lshlrev_b64 v[8:9], 4, v[8:9]
	global_load_dwordx2 v[10:11], v[10:11], off
	v_add_co_u32_e64 v8, s[2:3], v18, v8
	v_addc_co_u32_e64 v9, s[2:3], v17, v9, s[2:3]
	v_add_co_u32_e64 v27, s[2:3], s27, v8
	v_addc_co_u32_e64 v28, s[2:3], 0, v9, s[2:3]
	global_load_dword v25, v[8:9], off
	global_load_dword v26, v[27:28], off
	s_waitcnt vmcnt(2)
	v_subrev_co_u32_e64 v8, s[2:3], s25, v10
	v_subbrev_co_u32_e64 v9, s[2:3], 0, v11, s[2:3]
	v_lshlrev_b64 v[10:11], 1, v[8:9]
.LBB29_14:                              ;   in Loop: Header=BB29_12 Depth=2
	s_or_b64 exec, exec, s[28:29]
	v_lshl_or_b32 v8, v12, 3, v13
	ds_write_b64 v8, v[10:11]
	s_waitcnt vmcnt(0)
	ds_write2_b32 v21, v25, v26 offset1:1
	s_waitcnt lgkmcnt(0)
	; wave barrier
	s_and_saveexec_b64 s[28:29], vcc
	s_cbranch_execz .LBB29_11
; %bb.15:                               ;   in Loop: Header=BB29_12 Depth=2
	s_mov_b32 s30, 0
	v_mov_b32_e32 v8, v14
.LBB29_16:                              ;   Parent Loop BB29_9 Depth=1
                                        ;     Parent Loop BB29_12 Depth=2
                                        ; =>    This Inner Loop Header: Depth=3
	v_add_u32_e32 v9, s30, v13
	ds_read_b128 v[25:28], v9
	s_lshl_b64 s[34:35], s[6:7], 2
	v_mov_b32_e32 v11, s35
	s_add_i32 s30, s30, 16
	s_cmp_lg_u32 s30, 64
	s_waitcnt lgkmcnt(0)
	v_mul_lo_u32 v29, v26, s6
	v_mul_lo_u32 v30, v25, s7
	v_mad_u64_u32 v[9:10], s[2:3], v25, s6, 0
	v_mul_lo_u32 v28, v28, s6
	v_mul_lo_u32 v31, v27, s7
	v_mad_u64_u32 v[25:26], s[2:3], v27, s6, 0
	v_add3_u32 v10, v10, v30, v29
	v_lshlrev_b64 v[9:10], 2, v[9:10]
	v_add3_u32 v26, v26, v31, v28
	v_lshlrev_b64 v[25:26], 2, v[25:26]
	v_add_co_u32_e64 v9, s[2:3], v23, v9
	v_addc_co_u32_e64 v10, s[2:3], v24, v10, s[2:3]
	v_add_co_u32_e64 v25, s[2:3], v23, v25
	v_addc_co_u32_e64 v26, s[2:3], v24, v26, s[2:3]
	;; [unrolled: 2-line block ×4, first 2 shown]
	global_load_dword v11, v[9:10], off
	global_load_dword v31, v[27:28], off
	;; [unrolled: 1-line block ×4, first 2 shown]
	ds_read_b64 v[9:10], v8
	ds_read2_b32 v[25:26], v8 offset0:3 offset1:4
	v_add_u32_e32 v8, 24, v8
	s_waitcnt vmcnt(3) lgkmcnt(1)
	v_fmac_f32_e32 v22, v9, v11
	s_waitcnt vmcnt(2)
	v_fmac_f32_e32 v22, v10, v31
	s_waitcnt vmcnt(1) lgkmcnt(0)
	v_fmac_f32_e32 v22, v25, v32
	s_waitcnt vmcnt(0)
	v_fmac_f32_e32 v22, v26, v33
	s_cbranch_scc1 .LBB29_16
	s_branch .LBB29_11
.LBB29_17:                              ;   in Loop: Header=BB29_9 Depth=1
	s_or_b64 exec, exec, s[20:21]
.LBB29_18:                              ;   in Loop: Header=BB29_9 Depth=1
	s_or_b64 exec, exec, s[16:17]
	v_cmp_gt_i64_e32 vcc, s[18:19], v[4:5]
	s_and_saveexec_b64 s[2:3], vcc
	s_cbranch_execz .LBB29_8
; %bb.19:                               ;   in Loop: Header=BB29_9 Depth=1
	s_mov_b64 s[16:17], -1
	s_and_b64 vcc, exec, s[4:5]
	s_cbranch_vccz .LBB29_25
; %bb.20:                               ;   in Loop: Header=BB29_9 Depth=1
	s_and_b64 vcc, exec, s[8:9]
	s_cbranch_vccz .LBB29_22
; %bb.21:                               ;   in Loop: Header=BB29_9 Depth=1
	v_lshlrev_b64 v[6:7], 2, v[4:5]
	v_mul_f32_e32 v9, s24, v22
	v_add_co_u32_e32 v6, vcc, v19, v6
	v_addc_co_u32_e32 v7, vcc, v20, v7, vcc
	global_load_dword v8, v[6:7], off
	s_mov_b64 s[16:17], 0
	s_waitcnt vmcnt(0)
	v_fmac_f32_e32 v9, s26, v8
	global_store_dword v[6:7], v9, off
.LBB29_22:                              ;   in Loop: Header=BB29_9 Depth=1
	s_andn2_b64 vcc, exec, s[16:17]
	s_cbranch_vccnz .LBB29_24
; %bb.23:                               ;   in Loop: Header=BB29_9 Depth=1
	v_mul_lo_u32 v8, v5, s22
	v_mul_lo_u32 v9, v4, s23
	v_mad_u64_u32 v[6:7], s[16:17], v4, s22, 0
	v_add3_u32 v7, v7, v9, v8
	v_lshlrev_b64 v[6:7], 2, v[6:7]
	v_mul_f32_e32 v9, s24, v22
	v_add_co_u32_e32 v6, vcc, v15, v6
	v_addc_co_u32_e32 v7, vcc, v16, v7, vcc
	global_load_dword v8, v[6:7], off
	s_waitcnt vmcnt(0)
	v_fmac_f32_e32 v9, s26, v8
	global_store_dword v[6:7], v9, off
.LBB29_24:                              ;   in Loop: Header=BB29_9 Depth=1
	s_mov_b64 s[16:17], 0
.LBB29_25:                              ;   in Loop: Header=BB29_9 Depth=1
	s_andn2_b64 vcc, exec, s[16:17]
	s_cbranch_vccnz .LBB29_8
; %bb.26:                               ;   in Loop: Header=BB29_9 Depth=1
	v_mul_f32_e32 v6, s24, v22
	s_mov_b64 s[16:17], -1
	s_and_b64 vcc, exec, s[8:9]
	s_cbranch_vccz .LBB29_28
; %bb.27:                               ;   in Loop: Header=BB29_9 Depth=1
	v_lshlrev_b64 v[7:8], 2, v[4:5]
	s_mov_b64 s[16:17], 0
	v_add_co_u32_e32 v7, vcc, v19, v7
	v_addc_co_u32_e32 v8, vcc, v20, v8, vcc
	global_store_dword v[7:8], v6, off
.LBB29_28:                              ;   in Loop: Header=BB29_9 Depth=1
	s_andn2_b64 vcc, exec, s[16:17]
	s_cbranch_vccnz .LBB29_8
; %bb.29:                               ;   in Loop: Header=BB29_9 Depth=1
	v_mul_lo_u32 v7, v5, s22
	v_mul_lo_u32 v8, v4, s23
	v_mad_u64_u32 v[4:5], s[16:17], v4, s22, 0
	v_add3_u32 v5, v5, v8, v7
	v_lshlrev_b64 v[4:5], 2, v[4:5]
	v_add_co_u32_e32 v4, vcc, v15, v4
	v_addc_co_u32_e32 v5, vcc, v16, v5, vcc
	global_store_dword v[4:5], v6, off
	s_branch .LBB29_8
.LBB29_30:
	s_endpgm
	.section	.rodata,"a",@progbits
	.p2align	6, 0x0
	.amdhsa_kernel _ZN9rocsparseL29bsrmmnt_small_blockdim_kernelILj64ELj8ELj2EllffffEEv20rocsparse_direction_T3_S2_llNS_24const_host_device_scalarIT7_EEPKT2_PKS2_PKT4_PKT5_llS5_PT6_ll16rocsparse_order_21rocsparse_index_base_b
		.amdhsa_group_segment_fixed_size 1280
		.amdhsa_private_segment_fixed_size 0
		.amdhsa_kernarg_size 400
		.amdhsa_user_sgpr_count 6
		.amdhsa_user_sgpr_private_segment_buffer 1
		.amdhsa_user_sgpr_dispatch_ptr 0
		.amdhsa_user_sgpr_queue_ptr 0
		.amdhsa_user_sgpr_kernarg_segment_ptr 1
		.amdhsa_user_sgpr_dispatch_id 0
		.amdhsa_user_sgpr_flat_scratch_init 0
		.amdhsa_user_sgpr_private_segment_size 0
		.amdhsa_uses_dynamic_stack 0
		.amdhsa_system_sgpr_private_segment_wavefront_offset 0
		.amdhsa_system_sgpr_workgroup_id_x 1
		.amdhsa_system_sgpr_workgroup_id_y 0
		.amdhsa_system_sgpr_workgroup_id_z 0
		.amdhsa_system_sgpr_workgroup_info 0
		.amdhsa_system_vgpr_workitem_id 0
		.amdhsa_next_free_vgpr 34
		.amdhsa_next_free_sgpr 36
		.amdhsa_reserve_vcc 1
		.amdhsa_reserve_flat_scratch 0
		.amdhsa_float_round_mode_32 0
		.amdhsa_float_round_mode_16_64 0
		.amdhsa_float_denorm_mode_32 3
		.amdhsa_float_denorm_mode_16_64 3
		.amdhsa_dx10_clamp 1
		.amdhsa_ieee_mode 1
		.amdhsa_fp16_overflow 0
		.amdhsa_exception_fp_ieee_invalid_op 0
		.amdhsa_exception_fp_denorm_src 0
		.amdhsa_exception_fp_ieee_div_zero 0
		.amdhsa_exception_fp_ieee_overflow 0
		.amdhsa_exception_fp_ieee_underflow 0
		.amdhsa_exception_fp_ieee_inexact 0
		.amdhsa_exception_int_div_zero 0
	.end_amdhsa_kernel
	.section	.text._ZN9rocsparseL29bsrmmnt_small_blockdim_kernelILj64ELj8ELj2EllffffEEv20rocsparse_direction_T3_S2_llNS_24const_host_device_scalarIT7_EEPKT2_PKS2_PKT4_PKT5_llS5_PT6_ll16rocsparse_order_21rocsparse_index_base_b,"axG",@progbits,_ZN9rocsparseL29bsrmmnt_small_blockdim_kernelILj64ELj8ELj2EllffffEEv20rocsparse_direction_T3_S2_llNS_24const_host_device_scalarIT7_EEPKT2_PKS2_PKT4_PKT5_llS5_PT6_ll16rocsparse_order_21rocsparse_index_base_b,comdat
.Lfunc_end29:
	.size	_ZN9rocsparseL29bsrmmnt_small_blockdim_kernelILj64ELj8ELj2EllffffEEv20rocsparse_direction_T3_S2_llNS_24const_host_device_scalarIT7_EEPKT2_PKS2_PKT4_PKT5_llS5_PT6_ll16rocsparse_order_21rocsparse_index_base_b, .Lfunc_end29-_ZN9rocsparseL29bsrmmnt_small_blockdim_kernelILj64ELj8ELj2EllffffEEv20rocsparse_direction_T3_S2_llNS_24const_host_device_scalarIT7_EEPKT2_PKS2_PKT4_PKT5_llS5_PT6_ll16rocsparse_order_21rocsparse_index_base_b
                                        ; -- End function
	.set _ZN9rocsparseL29bsrmmnt_small_blockdim_kernelILj64ELj8ELj2EllffffEEv20rocsparse_direction_T3_S2_llNS_24const_host_device_scalarIT7_EEPKT2_PKS2_PKT4_PKT5_llS5_PT6_ll16rocsparse_order_21rocsparse_index_base_b.num_vgpr, 34
	.set _ZN9rocsparseL29bsrmmnt_small_blockdim_kernelILj64ELj8ELj2EllffffEEv20rocsparse_direction_T3_S2_llNS_24const_host_device_scalarIT7_EEPKT2_PKS2_PKT4_PKT5_llS5_PT6_ll16rocsparse_order_21rocsparse_index_base_b.num_agpr, 0
	.set _ZN9rocsparseL29bsrmmnt_small_blockdim_kernelILj64ELj8ELj2EllffffEEv20rocsparse_direction_T3_S2_llNS_24const_host_device_scalarIT7_EEPKT2_PKS2_PKT4_PKT5_llS5_PT6_ll16rocsparse_order_21rocsparse_index_base_b.numbered_sgpr, 36
	.set _ZN9rocsparseL29bsrmmnt_small_blockdim_kernelILj64ELj8ELj2EllffffEEv20rocsparse_direction_T3_S2_llNS_24const_host_device_scalarIT7_EEPKT2_PKS2_PKT4_PKT5_llS5_PT6_ll16rocsparse_order_21rocsparse_index_base_b.num_named_barrier, 0
	.set _ZN9rocsparseL29bsrmmnt_small_blockdim_kernelILj64ELj8ELj2EllffffEEv20rocsparse_direction_T3_S2_llNS_24const_host_device_scalarIT7_EEPKT2_PKS2_PKT4_PKT5_llS5_PT6_ll16rocsparse_order_21rocsparse_index_base_b.private_seg_size, 0
	.set _ZN9rocsparseL29bsrmmnt_small_blockdim_kernelILj64ELj8ELj2EllffffEEv20rocsparse_direction_T3_S2_llNS_24const_host_device_scalarIT7_EEPKT2_PKS2_PKT4_PKT5_llS5_PT6_ll16rocsparse_order_21rocsparse_index_base_b.uses_vcc, 1
	.set _ZN9rocsparseL29bsrmmnt_small_blockdim_kernelILj64ELj8ELj2EllffffEEv20rocsparse_direction_T3_S2_llNS_24const_host_device_scalarIT7_EEPKT2_PKS2_PKT4_PKT5_llS5_PT6_ll16rocsparse_order_21rocsparse_index_base_b.uses_flat_scratch, 0
	.set _ZN9rocsparseL29bsrmmnt_small_blockdim_kernelILj64ELj8ELj2EllffffEEv20rocsparse_direction_T3_S2_llNS_24const_host_device_scalarIT7_EEPKT2_PKS2_PKT4_PKT5_llS5_PT6_ll16rocsparse_order_21rocsparse_index_base_b.has_dyn_sized_stack, 0
	.set _ZN9rocsparseL29bsrmmnt_small_blockdim_kernelILj64ELj8ELj2EllffffEEv20rocsparse_direction_T3_S2_llNS_24const_host_device_scalarIT7_EEPKT2_PKS2_PKT4_PKT5_llS5_PT6_ll16rocsparse_order_21rocsparse_index_base_b.has_recursion, 0
	.set _ZN9rocsparseL29bsrmmnt_small_blockdim_kernelILj64ELj8ELj2EllffffEEv20rocsparse_direction_T3_S2_llNS_24const_host_device_scalarIT7_EEPKT2_PKS2_PKT4_PKT5_llS5_PT6_ll16rocsparse_order_21rocsparse_index_base_b.has_indirect_call, 0
	.section	.AMDGPU.csdata,"",@progbits
; Kernel info:
; codeLenInByte = 1356
; TotalNumSgprs: 40
; NumVgprs: 34
; ScratchSize: 0
; MemoryBound: 0
; FloatMode: 240
; IeeeMode: 1
; LDSByteSize: 1280 bytes/workgroup (compile time only)
; SGPRBlocks: 4
; VGPRBlocks: 8
; NumSGPRsForWavesPerEU: 40
; NumVGPRsForWavesPerEU: 34
; Occupancy: 7
; WaveLimiterHint : 1
; COMPUTE_PGM_RSRC2:SCRATCH_EN: 0
; COMPUTE_PGM_RSRC2:USER_SGPR: 6
; COMPUTE_PGM_RSRC2:TRAP_HANDLER: 0
; COMPUTE_PGM_RSRC2:TGID_X_EN: 1
; COMPUTE_PGM_RSRC2:TGID_Y_EN: 0
; COMPUTE_PGM_RSRC2:TGID_Z_EN: 0
; COMPUTE_PGM_RSRC2:TIDIG_COMP_CNT: 0
	.section	.text._ZN9rocsparseL29bsrmmnt_small_blockdim_kernelILj64ELj16ELj2EllffffEEv20rocsparse_direction_T3_S2_llNS_24const_host_device_scalarIT7_EEPKT2_PKS2_PKT4_PKT5_llS5_PT6_ll16rocsparse_order_21rocsparse_index_base_b,"axG",@progbits,_ZN9rocsparseL29bsrmmnt_small_blockdim_kernelILj64ELj16ELj2EllffffEEv20rocsparse_direction_T3_S2_llNS_24const_host_device_scalarIT7_EEPKT2_PKS2_PKT4_PKT5_llS5_PT6_ll16rocsparse_order_21rocsparse_index_base_b,comdat
	.globl	_ZN9rocsparseL29bsrmmnt_small_blockdim_kernelILj64ELj16ELj2EllffffEEv20rocsparse_direction_T3_S2_llNS_24const_host_device_scalarIT7_EEPKT2_PKS2_PKT4_PKT5_llS5_PT6_ll16rocsparse_order_21rocsparse_index_base_b ; -- Begin function _ZN9rocsparseL29bsrmmnt_small_blockdim_kernelILj64ELj16ELj2EllffffEEv20rocsparse_direction_T3_S2_llNS_24const_host_device_scalarIT7_EEPKT2_PKS2_PKT4_PKT5_llS5_PT6_ll16rocsparse_order_21rocsparse_index_base_b
	.p2align	8
	.type	_ZN9rocsparseL29bsrmmnt_small_blockdim_kernelILj64ELj16ELj2EllffffEEv20rocsparse_direction_T3_S2_llNS_24const_host_device_scalarIT7_EEPKT2_PKS2_PKT4_PKT5_llS5_PT6_ll16rocsparse_order_21rocsparse_index_base_b,@function
_ZN9rocsparseL29bsrmmnt_small_blockdim_kernelILj64ELj16ELj2EllffffEEv20rocsparse_direction_T3_S2_llNS_24const_host_device_scalarIT7_EEPKT2_PKS2_PKT4_PKT5_llS5_PT6_ll16rocsparse_order_21rocsparse_index_base_b: ; @_ZN9rocsparseL29bsrmmnt_small_blockdim_kernelILj64ELj16ELj2EllffffEEv20rocsparse_direction_T3_S2_llNS_24const_host_device_scalarIT7_EEPKT2_PKS2_PKT4_PKT5_llS5_PT6_ll16rocsparse_order_21rocsparse_index_base_b
; %bb.0:
	s_load_dwordx4 s[0:3], s[4:5], 0x80
	s_load_dwordx2 s[24:25], s[4:5], 0x28
	s_load_dwordx2 s[26:27], s[4:5], 0x60
	s_waitcnt lgkmcnt(0)
	s_bitcmp1_b32 s2, 0
	s_cselect_b64 s[8:9], -1, 0
	s_xor_b64 s[2:3], s[8:9], -1
	s_and_b64 vcc, exec, s[8:9]
	s_cbranch_vccnz .LBB30_2
; %bb.1:
	s_load_dword s24, s[24:25], 0x0
.LBB30_2:
	s_andn2_b64 vcc, exec, s[2:3]
	s_cbranch_vccnz .LBB30_4
; %bb.3:
	s_load_dword s26, s[26:27], 0x0
.LBB30_4:
	s_waitcnt lgkmcnt(0)
	v_cmp_eq_f32_e64 s[2:3], s24, 0
	v_cmp_eq_f32_e64 s[8:9], s26, 1.0
	s_and_b64 s[2:3], s[2:3], s[8:9]
	s_and_b64 vcc, exec, s[2:3]
	s_cbranch_vccnz .LBB30_30
; %bb.5:
	s_load_dword s2, s[4:5], 0x9c
	s_load_dwordx4 s[16:19], s[4:5], 0x8
	v_mov_b32_e32 v2, 0
	s_waitcnt lgkmcnt(0)
	s_and_b32 s2, s2, 0xffff
	s_mul_i32 s6, s6, s2
	v_add_u32_e32 v3, s6, v0
	v_lshrrev_b32_e32 v1, 5, v3
	v_cmp_gt_i64_e32 vcc, s[16:17], v[1:2]
	s_and_saveexec_b64 s[2:3], vcc
	s_cbranch_execz .LBB30_30
; %bb.6:
	v_cmp_lt_i64_e64 s[2:3], s[18:19], 1
	s_and_b64 vcc, exec, s[2:3]
	s_cbranch_vccnz .LBB30_30
; %bb.7:
	s_load_dwordx8 s[8:15], s[4:5], 0x30
	v_lshlrev_b32_e32 v1, 3, v1
	v_lshrrev_b32_e32 v2, 4, v3
	v_and_b32_e32 v12, 15, v0
	v_lshrrev_b32_e32 v0, 4, v0
	s_waitcnt lgkmcnt(0)
	global_load_dwordx4 v[4:7], v1, s[8:9]
	s_load_dword s2, s[4:5], 0x0
	s_load_dwordx4 s[20:23], s[4:5], 0x68
	s_load_dwordx2 s[6:7], s[4:5], 0x50
	v_mov_b32_e32 v1, 0x300
	s_cmp_lg_u32 s0, 1
	v_lshl_add_u32 v13, v0, 7, v1
	s_cselect_b64 s[8:9], -1, 0
	v_mul_u32_u24_e32 v14, 0xc0, v0
	s_waitcnt lgkmcnt(0)
	s_cmp_eq_u32 s2, 0
	v_mad_u64_u32 v[0:1], s[2:3], v2, s22, 0
	v_lshlrev_b32_e32 v3, 2, v2
	v_and_b32_e32 v9, 4, v3
	v_mov_b32_e32 v10, s13
	v_add_co_u32_e32 v18, vcc, s12, v9
	v_addc_co_u32_e32 v10, vcc, 0, v10, vcc
	v_mad_u64_u32 v[1:2], s[2:3], v2, s23, v[1:2]
	v_mov_b32_e32 v16, s21
	v_add_co_u32_e32 v15, vcc, s20, v3
	v_addc_co_u32_e32 v16, vcc, 0, v16, vcc
	v_add_co_u32_e32 v3, vcc, v18, v9
	v_addc_co_u32_e32 v9, vcc, 0, v10, vcc
	v_lshlrev_b64 v[0:1], 2, v[0:1]
	s_cselect_b64 vcc, -1, 0
	v_mov_b32_e32 v11, s21
	v_cndmask_b32_e32 v17, v10, v9, vcc
	v_cndmask_b32_e32 v18, v18, v3, vcc
	s_and_b64 s[2:3], vcc, exec
	v_add_co_u32_e32 v19, vcc, s20, v0
	v_addc_co_u32_e32 v20, vcc, v11, v1, vcc
	s_mov_b32 s25, s1
	v_mul_u32_u24_e32 v8, 12, v12
	v_cmp_neq_f32_e64 s[4:5], s26, 0
	s_cselect_b32 s27, 4, 8
	s_mov_b64 s[12:13], 0
	v_add_u32_e32 v21, v14, v8
	s_waitcnt vmcnt(0)
	v_subrev_co_u32_e32 v0, vcc, s1, v4
	v_subbrev_co_u32_e32 v1, vcc, 0, v5, vcc
	v_subrev_co_u32_e32 v2, vcc, s1, v6
	v_cmp_lt_i64_e64 s[0:1], v[4:5], v[6:7]
	v_subbrev_co_u32_e32 v3, vcc, 0, v7, vcc
	s_branch .LBB30_9
.LBB30_8:                               ;   in Loop: Header=BB30_9 Depth=1
	s_or_b64 exec, exec, s[2:3]
	s_add_u32 s12, s12, 16
	v_mov_b32_e32 v4, s18
	s_addc_u32 s13, s13, 0
	v_mov_b32_e32 v5, s19
	v_cmp_lt_i64_e32 vcc, s[12:13], v[4:5]
	s_cbranch_vccz .LBB30_30
.LBB30_9:                               ; =>This Loop Header: Depth=1
                                        ;     Child Loop BB30_12 Depth 2
                                        ;       Child Loop BB30_16 Depth 3
	v_mov_b32_e32 v5, s13
	v_or_b32_e32 v4, s12, v12
	v_mov_b32_e32 v22, 0
	s_and_saveexec_b64 s[16:17], s[0:1]
	s_cbranch_execz .LBB30_18
; %bb.10:                               ;   in Loop: Header=BB30_9 Depth=1
	v_lshlrev_b64 v[6:7], 2, v[4:5]
	v_mov_b32_e32 v8, s15
	v_add_co_u32_e64 v23, s[2:3], s14, v6
	v_cmp_gt_i64_e32 vcc, s[18:19], v[4:5]
	v_addc_co_u32_e64 v24, s[2:3], v8, v7, s[2:3]
	v_mov_b32_e32 v7, v1
	v_mov_b32_e32 v22, 0
	s_mov_b64 s[20:21], 0
	v_mov_b32_e32 v6, v0
	s_branch .LBB30_12
.LBB30_11:                              ;   in Loop: Header=BB30_12 Depth=2
	s_or_b64 exec, exec, s[28:29]
	v_add_co_u32_e64 v6, s[2:3], 16, v6
	v_addc_co_u32_e64 v7, s[2:3], 0, v7, s[2:3]
	v_cmp_ge_i64_e64 s[2:3], v[6:7], v[2:3]
	s_or_b64 s[20:21], s[2:3], s[20:21]
	s_andn2_b64 exec, exec, s[20:21]
	s_cbranch_execz .LBB30_17
.LBB30_12:                              ;   Parent Loop BB30_9 Depth=1
                                        ; =>  This Loop Header: Depth=2
                                        ;       Child Loop BB30_16 Depth 3
	v_add_co_u32_e64 v8, s[2:3], v6, v12
	v_addc_co_u32_e64 v9, s[2:3], 0, v7, s[2:3]
	v_cmp_lt_i64_e64 s[2:3], v[8:9], v[2:3]
	v_mov_b32_e32 v10, 0
	v_mov_b32_e32 v11, 0
	v_mov_b32_e32 v25, 0
	v_mov_b32_e32 v26, 0
	s_and_saveexec_b64 s[28:29], s[2:3]
	s_cbranch_execz .LBB30_14
; %bb.13:                               ;   in Loop: Header=BB30_12 Depth=2
	v_lshlrev_b64 v[10:11], 3, v[8:9]
	v_mov_b32_e32 v25, s11
	v_add_co_u32_e64 v10, s[2:3], s10, v10
	v_addc_co_u32_e64 v11, s[2:3], v25, v11, s[2:3]
	v_lshlrev_b64 v[8:9], 4, v[8:9]
	global_load_dwordx2 v[10:11], v[10:11], off
	v_add_co_u32_e64 v8, s[2:3], v18, v8
	v_addc_co_u32_e64 v9, s[2:3], v17, v9, s[2:3]
	v_add_co_u32_e64 v27, s[2:3], s27, v8
	v_addc_co_u32_e64 v28, s[2:3], 0, v9, s[2:3]
	global_load_dword v25, v[8:9], off
	global_load_dword v26, v[27:28], off
	s_waitcnt vmcnt(2)
	v_subrev_co_u32_e64 v8, s[2:3], s25, v10
	v_subbrev_co_u32_e64 v9, s[2:3], 0, v11, s[2:3]
	v_lshlrev_b64 v[10:11], 1, v[8:9]
.LBB30_14:                              ;   in Loop: Header=BB30_12 Depth=2
	s_or_b64 exec, exec, s[28:29]
	v_lshl_or_b32 v8, v12, 3, v13
	ds_write_b64 v8, v[10:11]
	s_waitcnt vmcnt(0)
	ds_write2_b32 v21, v25, v26 offset1:1
	s_waitcnt lgkmcnt(0)
	; wave barrier
	s_and_saveexec_b64 s[28:29], vcc
	s_cbranch_execz .LBB30_11
; %bb.15:                               ;   in Loop: Header=BB30_12 Depth=2
	s_mov_b32 s30, 0
	v_mov_b32_e32 v8, v14
.LBB30_16:                              ;   Parent Loop BB30_9 Depth=1
                                        ;     Parent Loop BB30_12 Depth=2
                                        ; =>    This Inner Loop Header: Depth=3
	v_add_u32_e32 v9, s30, v13
	ds_read_b128 v[25:28], v9
	s_lshl_b64 s[34:35], s[6:7], 2
	v_mov_b32_e32 v11, s35
	s_add_i32 s30, s30, 16
	s_cmpk_lg_i32 s30, 0x80
	s_waitcnt lgkmcnt(0)
	v_mul_lo_u32 v29, v26, s6
	v_mul_lo_u32 v30, v25, s7
	v_mad_u64_u32 v[9:10], s[2:3], v25, s6, 0
	v_mul_lo_u32 v28, v28, s6
	v_mul_lo_u32 v31, v27, s7
	v_mad_u64_u32 v[25:26], s[2:3], v27, s6, 0
	v_add3_u32 v10, v10, v30, v29
	v_lshlrev_b64 v[9:10], 2, v[9:10]
	v_add3_u32 v26, v26, v31, v28
	v_lshlrev_b64 v[25:26], 2, v[25:26]
	v_add_co_u32_e64 v9, s[2:3], v23, v9
	v_addc_co_u32_e64 v10, s[2:3], v24, v10, s[2:3]
	v_add_co_u32_e64 v25, s[2:3], v23, v25
	v_addc_co_u32_e64 v26, s[2:3], v24, v26, s[2:3]
	;; [unrolled: 2-line block ×4, first 2 shown]
	global_load_dword v11, v[9:10], off
	global_load_dword v31, v[27:28], off
	global_load_dword v32, v[25:26], off
	global_load_dword v33, v[29:30], off
	ds_read_b64 v[9:10], v8
	ds_read2_b32 v[25:26], v8 offset0:3 offset1:4
	v_add_u32_e32 v8, 24, v8
	s_waitcnt vmcnt(3) lgkmcnt(1)
	v_fmac_f32_e32 v22, v9, v11
	s_waitcnt vmcnt(2)
	v_fmac_f32_e32 v22, v10, v31
	s_waitcnt vmcnt(1) lgkmcnt(0)
	v_fmac_f32_e32 v22, v25, v32
	s_waitcnt vmcnt(0)
	v_fmac_f32_e32 v22, v26, v33
	s_cbranch_scc1 .LBB30_16
	s_branch .LBB30_11
.LBB30_17:                              ;   in Loop: Header=BB30_9 Depth=1
	s_or_b64 exec, exec, s[20:21]
.LBB30_18:                              ;   in Loop: Header=BB30_9 Depth=1
	s_or_b64 exec, exec, s[16:17]
	v_cmp_gt_i64_e32 vcc, s[18:19], v[4:5]
	s_and_saveexec_b64 s[2:3], vcc
	s_cbranch_execz .LBB30_8
; %bb.19:                               ;   in Loop: Header=BB30_9 Depth=1
	s_mov_b64 s[16:17], -1
	s_and_b64 vcc, exec, s[4:5]
	s_cbranch_vccz .LBB30_25
; %bb.20:                               ;   in Loop: Header=BB30_9 Depth=1
	s_and_b64 vcc, exec, s[8:9]
	s_cbranch_vccz .LBB30_22
; %bb.21:                               ;   in Loop: Header=BB30_9 Depth=1
	v_lshlrev_b64 v[6:7], 2, v[4:5]
	v_mul_f32_e32 v9, s24, v22
	v_add_co_u32_e32 v6, vcc, v19, v6
	v_addc_co_u32_e32 v7, vcc, v20, v7, vcc
	global_load_dword v8, v[6:7], off
	s_mov_b64 s[16:17], 0
	s_waitcnt vmcnt(0)
	v_fmac_f32_e32 v9, s26, v8
	global_store_dword v[6:7], v9, off
.LBB30_22:                              ;   in Loop: Header=BB30_9 Depth=1
	s_andn2_b64 vcc, exec, s[16:17]
	s_cbranch_vccnz .LBB30_24
; %bb.23:                               ;   in Loop: Header=BB30_9 Depth=1
	v_mul_lo_u32 v8, v5, s22
	v_mul_lo_u32 v9, v4, s23
	v_mad_u64_u32 v[6:7], s[16:17], v4, s22, 0
	v_add3_u32 v7, v7, v9, v8
	v_lshlrev_b64 v[6:7], 2, v[6:7]
	v_mul_f32_e32 v9, s24, v22
	v_add_co_u32_e32 v6, vcc, v15, v6
	v_addc_co_u32_e32 v7, vcc, v16, v7, vcc
	global_load_dword v8, v[6:7], off
	s_waitcnt vmcnt(0)
	v_fmac_f32_e32 v9, s26, v8
	global_store_dword v[6:7], v9, off
.LBB30_24:                              ;   in Loop: Header=BB30_9 Depth=1
	s_mov_b64 s[16:17], 0
.LBB30_25:                              ;   in Loop: Header=BB30_9 Depth=1
	s_andn2_b64 vcc, exec, s[16:17]
	s_cbranch_vccnz .LBB30_8
; %bb.26:                               ;   in Loop: Header=BB30_9 Depth=1
	v_mul_f32_e32 v6, s24, v22
	s_mov_b64 s[16:17], -1
	s_and_b64 vcc, exec, s[8:9]
	s_cbranch_vccz .LBB30_28
; %bb.27:                               ;   in Loop: Header=BB30_9 Depth=1
	v_lshlrev_b64 v[7:8], 2, v[4:5]
	s_mov_b64 s[16:17], 0
	v_add_co_u32_e32 v7, vcc, v19, v7
	v_addc_co_u32_e32 v8, vcc, v20, v8, vcc
	global_store_dword v[7:8], v6, off
.LBB30_28:                              ;   in Loop: Header=BB30_9 Depth=1
	s_andn2_b64 vcc, exec, s[16:17]
	s_cbranch_vccnz .LBB30_8
; %bb.29:                               ;   in Loop: Header=BB30_9 Depth=1
	v_mul_lo_u32 v7, v5, s22
	v_mul_lo_u32 v8, v4, s23
	v_mad_u64_u32 v[4:5], s[16:17], v4, s22, 0
	v_add3_u32 v5, v5, v8, v7
	v_lshlrev_b64 v[4:5], 2, v[4:5]
	v_add_co_u32_e32 v4, vcc, v15, v4
	v_addc_co_u32_e32 v5, vcc, v16, v5, vcc
	global_store_dword v[4:5], v6, off
	s_branch .LBB30_8
.LBB30_30:
	s_endpgm
	.section	.rodata,"a",@progbits
	.p2align	6, 0x0
	.amdhsa_kernel _ZN9rocsparseL29bsrmmnt_small_blockdim_kernelILj64ELj16ELj2EllffffEEv20rocsparse_direction_T3_S2_llNS_24const_host_device_scalarIT7_EEPKT2_PKS2_PKT4_PKT5_llS5_PT6_ll16rocsparse_order_21rocsparse_index_base_b
		.amdhsa_group_segment_fixed_size 1280
		.amdhsa_private_segment_fixed_size 0
		.amdhsa_kernarg_size 400
		.amdhsa_user_sgpr_count 6
		.amdhsa_user_sgpr_private_segment_buffer 1
		.amdhsa_user_sgpr_dispatch_ptr 0
		.amdhsa_user_sgpr_queue_ptr 0
		.amdhsa_user_sgpr_kernarg_segment_ptr 1
		.amdhsa_user_sgpr_dispatch_id 0
		.amdhsa_user_sgpr_flat_scratch_init 0
		.amdhsa_user_sgpr_private_segment_size 0
		.amdhsa_uses_dynamic_stack 0
		.amdhsa_system_sgpr_private_segment_wavefront_offset 0
		.amdhsa_system_sgpr_workgroup_id_x 1
		.amdhsa_system_sgpr_workgroup_id_y 0
		.amdhsa_system_sgpr_workgroup_id_z 0
		.amdhsa_system_sgpr_workgroup_info 0
		.amdhsa_system_vgpr_workitem_id 0
		.amdhsa_next_free_vgpr 34
		.amdhsa_next_free_sgpr 36
		.amdhsa_reserve_vcc 1
		.amdhsa_reserve_flat_scratch 0
		.amdhsa_float_round_mode_32 0
		.amdhsa_float_round_mode_16_64 0
		.amdhsa_float_denorm_mode_32 3
		.amdhsa_float_denorm_mode_16_64 3
		.amdhsa_dx10_clamp 1
		.amdhsa_ieee_mode 1
		.amdhsa_fp16_overflow 0
		.amdhsa_exception_fp_ieee_invalid_op 0
		.amdhsa_exception_fp_denorm_src 0
		.amdhsa_exception_fp_ieee_div_zero 0
		.amdhsa_exception_fp_ieee_overflow 0
		.amdhsa_exception_fp_ieee_underflow 0
		.amdhsa_exception_fp_ieee_inexact 0
		.amdhsa_exception_int_div_zero 0
	.end_amdhsa_kernel
	.section	.text._ZN9rocsparseL29bsrmmnt_small_blockdim_kernelILj64ELj16ELj2EllffffEEv20rocsparse_direction_T3_S2_llNS_24const_host_device_scalarIT7_EEPKT2_PKS2_PKT4_PKT5_llS5_PT6_ll16rocsparse_order_21rocsparse_index_base_b,"axG",@progbits,_ZN9rocsparseL29bsrmmnt_small_blockdim_kernelILj64ELj16ELj2EllffffEEv20rocsparse_direction_T3_S2_llNS_24const_host_device_scalarIT7_EEPKT2_PKS2_PKT4_PKT5_llS5_PT6_ll16rocsparse_order_21rocsparse_index_base_b,comdat
.Lfunc_end30:
	.size	_ZN9rocsparseL29bsrmmnt_small_blockdim_kernelILj64ELj16ELj2EllffffEEv20rocsparse_direction_T3_S2_llNS_24const_host_device_scalarIT7_EEPKT2_PKS2_PKT4_PKT5_llS5_PT6_ll16rocsparse_order_21rocsparse_index_base_b, .Lfunc_end30-_ZN9rocsparseL29bsrmmnt_small_blockdim_kernelILj64ELj16ELj2EllffffEEv20rocsparse_direction_T3_S2_llNS_24const_host_device_scalarIT7_EEPKT2_PKS2_PKT4_PKT5_llS5_PT6_ll16rocsparse_order_21rocsparse_index_base_b
                                        ; -- End function
	.set _ZN9rocsparseL29bsrmmnt_small_blockdim_kernelILj64ELj16ELj2EllffffEEv20rocsparse_direction_T3_S2_llNS_24const_host_device_scalarIT7_EEPKT2_PKS2_PKT4_PKT5_llS5_PT6_ll16rocsparse_order_21rocsparse_index_base_b.num_vgpr, 34
	.set _ZN9rocsparseL29bsrmmnt_small_blockdim_kernelILj64ELj16ELj2EllffffEEv20rocsparse_direction_T3_S2_llNS_24const_host_device_scalarIT7_EEPKT2_PKS2_PKT4_PKT5_llS5_PT6_ll16rocsparse_order_21rocsparse_index_base_b.num_agpr, 0
	.set _ZN9rocsparseL29bsrmmnt_small_blockdim_kernelILj64ELj16ELj2EllffffEEv20rocsparse_direction_T3_S2_llNS_24const_host_device_scalarIT7_EEPKT2_PKS2_PKT4_PKT5_llS5_PT6_ll16rocsparse_order_21rocsparse_index_base_b.numbered_sgpr, 36
	.set _ZN9rocsparseL29bsrmmnt_small_blockdim_kernelILj64ELj16ELj2EllffffEEv20rocsparse_direction_T3_S2_llNS_24const_host_device_scalarIT7_EEPKT2_PKS2_PKT4_PKT5_llS5_PT6_ll16rocsparse_order_21rocsparse_index_base_b.num_named_barrier, 0
	.set _ZN9rocsparseL29bsrmmnt_small_blockdim_kernelILj64ELj16ELj2EllffffEEv20rocsparse_direction_T3_S2_llNS_24const_host_device_scalarIT7_EEPKT2_PKS2_PKT4_PKT5_llS5_PT6_ll16rocsparse_order_21rocsparse_index_base_b.private_seg_size, 0
	.set _ZN9rocsparseL29bsrmmnt_small_blockdim_kernelILj64ELj16ELj2EllffffEEv20rocsparse_direction_T3_S2_llNS_24const_host_device_scalarIT7_EEPKT2_PKS2_PKT4_PKT5_llS5_PT6_ll16rocsparse_order_21rocsparse_index_base_b.uses_vcc, 1
	.set _ZN9rocsparseL29bsrmmnt_small_blockdim_kernelILj64ELj16ELj2EllffffEEv20rocsparse_direction_T3_S2_llNS_24const_host_device_scalarIT7_EEPKT2_PKS2_PKT4_PKT5_llS5_PT6_ll16rocsparse_order_21rocsparse_index_base_b.uses_flat_scratch, 0
	.set _ZN9rocsparseL29bsrmmnt_small_blockdim_kernelILj64ELj16ELj2EllffffEEv20rocsparse_direction_T3_S2_llNS_24const_host_device_scalarIT7_EEPKT2_PKS2_PKT4_PKT5_llS5_PT6_ll16rocsparse_order_21rocsparse_index_base_b.has_dyn_sized_stack, 0
	.set _ZN9rocsparseL29bsrmmnt_small_blockdim_kernelILj64ELj16ELj2EllffffEEv20rocsparse_direction_T3_S2_llNS_24const_host_device_scalarIT7_EEPKT2_PKS2_PKT4_PKT5_llS5_PT6_ll16rocsparse_order_21rocsparse_index_base_b.has_recursion, 0
	.set _ZN9rocsparseL29bsrmmnt_small_blockdim_kernelILj64ELj16ELj2EllffffEEv20rocsparse_direction_T3_S2_llNS_24const_host_device_scalarIT7_EEPKT2_PKS2_PKT4_PKT5_llS5_PT6_ll16rocsparse_order_21rocsparse_index_base_b.has_indirect_call, 0
	.section	.AMDGPU.csdata,"",@progbits
; Kernel info:
; codeLenInByte = 1356
; TotalNumSgprs: 40
; NumVgprs: 34
; ScratchSize: 0
; MemoryBound: 0
; FloatMode: 240
; IeeeMode: 1
; LDSByteSize: 1280 bytes/workgroup (compile time only)
; SGPRBlocks: 4
; VGPRBlocks: 8
; NumSGPRsForWavesPerEU: 40
; NumVGPRsForWavesPerEU: 34
; Occupancy: 7
; WaveLimiterHint : 1
; COMPUTE_PGM_RSRC2:SCRATCH_EN: 0
; COMPUTE_PGM_RSRC2:USER_SGPR: 6
; COMPUTE_PGM_RSRC2:TRAP_HANDLER: 0
; COMPUTE_PGM_RSRC2:TGID_X_EN: 1
; COMPUTE_PGM_RSRC2:TGID_Y_EN: 0
; COMPUTE_PGM_RSRC2:TGID_Z_EN: 0
; COMPUTE_PGM_RSRC2:TIDIG_COMP_CNT: 0
	.section	.text._ZN9rocsparseL29bsrmmnt_small_blockdim_kernelILj64ELj32ELj2EllffffEEv20rocsparse_direction_T3_S2_llNS_24const_host_device_scalarIT7_EEPKT2_PKS2_PKT4_PKT5_llS5_PT6_ll16rocsparse_order_21rocsparse_index_base_b,"axG",@progbits,_ZN9rocsparseL29bsrmmnt_small_blockdim_kernelILj64ELj32ELj2EllffffEEv20rocsparse_direction_T3_S2_llNS_24const_host_device_scalarIT7_EEPKT2_PKS2_PKT4_PKT5_llS5_PT6_ll16rocsparse_order_21rocsparse_index_base_b,comdat
	.globl	_ZN9rocsparseL29bsrmmnt_small_blockdim_kernelILj64ELj32ELj2EllffffEEv20rocsparse_direction_T3_S2_llNS_24const_host_device_scalarIT7_EEPKT2_PKS2_PKT4_PKT5_llS5_PT6_ll16rocsparse_order_21rocsparse_index_base_b ; -- Begin function _ZN9rocsparseL29bsrmmnt_small_blockdim_kernelILj64ELj32ELj2EllffffEEv20rocsparse_direction_T3_S2_llNS_24const_host_device_scalarIT7_EEPKT2_PKS2_PKT4_PKT5_llS5_PT6_ll16rocsparse_order_21rocsparse_index_base_b
	.p2align	8
	.type	_ZN9rocsparseL29bsrmmnt_small_blockdim_kernelILj64ELj32ELj2EllffffEEv20rocsparse_direction_T3_S2_llNS_24const_host_device_scalarIT7_EEPKT2_PKS2_PKT4_PKT5_llS5_PT6_ll16rocsparse_order_21rocsparse_index_base_b,@function
_ZN9rocsparseL29bsrmmnt_small_blockdim_kernelILj64ELj32ELj2EllffffEEv20rocsparse_direction_T3_S2_llNS_24const_host_device_scalarIT7_EEPKT2_PKS2_PKT4_PKT5_llS5_PT6_ll16rocsparse_order_21rocsparse_index_base_b: ; @_ZN9rocsparseL29bsrmmnt_small_blockdim_kernelILj64ELj32ELj2EllffffEEv20rocsparse_direction_T3_S2_llNS_24const_host_device_scalarIT7_EEPKT2_PKS2_PKT4_PKT5_llS5_PT6_ll16rocsparse_order_21rocsparse_index_base_b
; %bb.0:
	s_load_dwordx4 s[0:3], s[4:5], 0x80
	s_load_dwordx2 s[24:25], s[4:5], 0x28
	s_load_dwordx2 s[26:27], s[4:5], 0x60
	s_waitcnt lgkmcnt(0)
	s_bitcmp1_b32 s2, 0
	s_cselect_b64 s[8:9], -1, 0
	s_xor_b64 s[2:3], s[8:9], -1
	s_and_b64 vcc, exec, s[8:9]
	s_cbranch_vccnz .LBB31_2
; %bb.1:
	s_load_dword s24, s[24:25], 0x0
.LBB31_2:
	s_andn2_b64 vcc, exec, s[2:3]
	s_cbranch_vccnz .LBB31_4
; %bb.3:
	s_load_dword s26, s[26:27], 0x0
.LBB31_4:
	s_waitcnt lgkmcnt(0)
	v_cmp_eq_f32_e64 s[2:3], s24, 0
	v_cmp_eq_f32_e64 s[8:9], s26, 1.0
	s_and_b64 s[2:3], s[2:3], s[8:9]
	s_and_b64 vcc, exec, s[2:3]
	s_cbranch_vccnz .LBB31_30
; %bb.5:
	s_load_dword s2, s[4:5], 0x9c
	s_load_dwordx4 s[16:19], s[4:5], 0x8
	v_mov_b32_e32 v2, 0
	s_waitcnt lgkmcnt(0)
	s_and_b32 s2, s2, 0xffff
	s_mul_i32 s6, s6, s2
	v_add_u32_e32 v3, s6, v0
	v_lshrrev_b32_e32 v1, 6, v3
	v_cmp_gt_i64_e32 vcc, s[16:17], v[1:2]
	s_and_saveexec_b64 s[2:3], vcc
	s_cbranch_execz .LBB31_30
; %bb.6:
	v_cmp_lt_i64_e64 s[2:3], s[18:19], 1
	s_and_b64 vcc, exec, s[2:3]
	s_cbranch_vccnz .LBB31_30
; %bb.7:
	s_load_dwordx8 s[8:15], s[4:5], 0x30
	v_lshlrev_b32_e32 v1, 3, v1
	v_lshrrev_b32_e32 v2, 5, v3
	v_and_b32_e32 v12, 31, v0
	v_lshrrev_b32_e32 v0, 5, v0
	s_waitcnt lgkmcnt(0)
	global_load_dwordx4 v[4:7], v1, s[8:9]
	s_load_dword s2, s[4:5], 0x0
	s_load_dwordx4 s[20:23], s[4:5], 0x68
	s_load_dwordx2 s[6:7], s[4:5], 0x50
	v_mov_b32_e32 v1, 0x300
	s_cmp_lg_u32 s0, 1
	v_lshl_add_u32 v13, v0, 8, v1
	s_cselect_b64 s[8:9], -1, 0
	v_mul_u32_u24_e32 v14, 0x180, v0
	s_waitcnt lgkmcnt(0)
	s_cmp_eq_u32 s2, 0
	v_mad_u64_u32 v[0:1], s[2:3], v2, s22, 0
	v_lshlrev_b32_e32 v3, 2, v2
	v_and_b32_e32 v9, 4, v3
	v_mov_b32_e32 v10, s13
	v_add_co_u32_e32 v18, vcc, s12, v9
	v_addc_co_u32_e32 v10, vcc, 0, v10, vcc
	v_mad_u64_u32 v[1:2], s[2:3], v2, s23, v[1:2]
	v_mov_b32_e32 v16, s21
	v_add_co_u32_e32 v15, vcc, s20, v3
	v_addc_co_u32_e32 v16, vcc, 0, v16, vcc
	v_add_co_u32_e32 v3, vcc, v18, v9
	v_addc_co_u32_e32 v9, vcc, 0, v10, vcc
	v_lshlrev_b64 v[0:1], 2, v[0:1]
	s_cselect_b64 vcc, -1, 0
	v_mov_b32_e32 v11, s21
	v_cndmask_b32_e32 v17, v10, v9, vcc
	v_cndmask_b32_e32 v18, v18, v3, vcc
	s_and_b64 s[2:3], vcc, exec
	v_add_co_u32_e32 v19, vcc, s20, v0
	v_addc_co_u32_e32 v20, vcc, v11, v1, vcc
	s_mov_b32 s25, s1
	v_mul_u32_u24_e32 v8, 12, v12
	v_cmp_neq_f32_e64 s[4:5], s26, 0
	s_cselect_b32 s27, 4, 8
	s_mov_b64 s[12:13], 0
	v_add_u32_e32 v21, v14, v8
	s_waitcnt vmcnt(0)
	v_subrev_co_u32_e32 v0, vcc, s1, v4
	v_subbrev_co_u32_e32 v1, vcc, 0, v5, vcc
	v_subrev_co_u32_e32 v2, vcc, s1, v6
	v_cmp_lt_i64_e64 s[0:1], v[4:5], v[6:7]
	v_subbrev_co_u32_e32 v3, vcc, 0, v7, vcc
	s_branch .LBB31_9
.LBB31_8:                               ;   in Loop: Header=BB31_9 Depth=1
	s_or_b64 exec, exec, s[2:3]
	s_add_u32 s12, s12, 32
	v_mov_b32_e32 v4, s18
	s_addc_u32 s13, s13, 0
	v_mov_b32_e32 v5, s19
	v_cmp_lt_i64_e32 vcc, s[12:13], v[4:5]
	s_cbranch_vccz .LBB31_30
.LBB31_9:                               ; =>This Loop Header: Depth=1
                                        ;     Child Loop BB31_12 Depth 2
                                        ;       Child Loop BB31_16 Depth 3
	v_mov_b32_e32 v5, s13
	v_or_b32_e32 v4, s12, v12
	v_mov_b32_e32 v22, 0
	s_and_saveexec_b64 s[16:17], s[0:1]
	s_cbranch_execz .LBB31_18
; %bb.10:                               ;   in Loop: Header=BB31_9 Depth=1
	v_lshlrev_b64 v[6:7], 2, v[4:5]
	v_mov_b32_e32 v8, s15
	v_add_co_u32_e64 v23, s[2:3], s14, v6
	v_cmp_gt_i64_e32 vcc, s[18:19], v[4:5]
	v_addc_co_u32_e64 v24, s[2:3], v8, v7, s[2:3]
	v_mov_b32_e32 v7, v1
	v_mov_b32_e32 v22, 0
	s_mov_b64 s[20:21], 0
	v_mov_b32_e32 v6, v0
	s_branch .LBB31_12
.LBB31_11:                              ;   in Loop: Header=BB31_12 Depth=2
	s_or_b64 exec, exec, s[28:29]
	v_add_co_u32_e64 v6, s[2:3], 32, v6
	v_addc_co_u32_e64 v7, s[2:3], 0, v7, s[2:3]
	v_cmp_ge_i64_e64 s[2:3], v[6:7], v[2:3]
	s_or_b64 s[20:21], s[2:3], s[20:21]
	s_andn2_b64 exec, exec, s[20:21]
	s_cbranch_execz .LBB31_17
.LBB31_12:                              ;   Parent Loop BB31_9 Depth=1
                                        ; =>  This Loop Header: Depth=2
                                        ;       Child Loop BB31_16 Depth 3
	v_add_co_u32_e64 v8, s[2:3], v6, v12
	v_addc_co_u32_e64 v9, s[2:3], 0, v7, s[2:3]
	v_cmp_lt_i64_e64 s[2:3], v[8:9], v[2:3]
	v_mov_b32_e32 v10, 0
	v_mov_b32_e32 v11, 0
	;; [unrolled: 1-line block ×4, first 2 shown]
	s_and_saveexec_b64 s[28:29], s[2:3]
	s_cbranch_execz .LBB31_14
; %bb.13:                               ;   in Loop: Header=BB31_12 Depth=2
	v_lshlrev_b64 v[10:11], 3, v[8:9]
	v_mov_b32_e32 v25, s11
	v_add_co_u32_e64 v10, s[2:3], s10, v10
	v_addc_co_u32_e64 v11, s[2:3], v25, v11, s[2:3]
	v_lshlrev_b64 v[8:9], 4, v[8:9]
	global_load_dwordx2 v[10:11], v[10:11], off
	v_add_co_u32_e64 v8, s[2:3], v18, v8
	v_addc_co_u32_e64 v9, s[2:3], v17, v9, s[2:3]
	v_add_co_u32_e64 v27, s[2:3], s27, v8
	v_addc_co_u32_e64 v28, s[2:3], 0, v9, s[2:3]
	global_load_dword v25, v[8:9], off
	global_load_dword v26, v[27:28], off
	s_waitcnt vmcnt(2)
	v_subrev_co_u32_e64 v8, s[2:3], s25, v10
	v_subbrev_co_u32_e64 v9, s[2:3], 0, v11, s[2:3]
	v_lshlrev_b64 v[10:11], 1, v[8:9]
.LBB31_14:                              ;   in Loop: Header=BB31_12 Depth=2
	s_or_b64 exec, exec, s[28:29]
	v_lshl_or_b32 v8, v12, 3, v13
	ds_write_b64 v8, v[10:11]
	s_waitcnt vmcnt(0)
	ds_write2_b32 v21, v25, v26 offset1:1
	s_waitcnt lgkmcnt(0)
	; wave barrier
	s_and_saveexec_b64 s[28:29], vcc
	s_cbranch_execz .LBB31_11
; %bb.15:                               ;   in Loop: Header=BB31_12 Depth=2
	s_mov_b32 s30, 0
	v_mov_b32_e32 v8, v14
.LBB31_16:                              ;   Parent Loop BB31_9 Depth=1
                                        ;     Parent Loop BB31_12 Depth=2
                                        ; =>    This Inner Loop Header: Depth=3
	v_add_u32_e32 v9, s30, v13
	ds_read_b128 v[25:28], v9
	s_lshl_b64 s[34:35], s[6:7], 2
	v_mov_b32_e32 v11, s35
	s_add_i32 s30, s30, 16
	s_cmpk_lg_i32 s30, 0x100
	s_waitcnt lgkmcnt(0)
	v_mul_lo_u32 v29, v26, s6
	v_mul_lo_u32 v30, v25, s7
	v_mad_u64_u32 v[9:10], s[2:3], v25, s6, 0
	v_mul_lo_u32 v28, v28, s6
	v_mul_lo_u32 v31, v27, s7
	v_mad_u64_u32 v[25:26], s[2:3], v27, s6, 0
	v_add3_u32 v10, v10, v30, v29
	v_lshlrev_b64 v[9:10], 2, v[9:10]
	v_add3_u32 v26, v26, v31, v28
	v_lshlrev_b64 v[25:26], 2, v[25:26]
	v_add_co_u32_e64 v9, s[2:3], v23, v9
	v_addc_co_u32_e64 v10, s[2:3], v24, v10, s[2:3]
	v_add_co_u32_e64 v25, s[2:3], v23, v25
	v_addc_co_u32_e64 v26, s[2:3], v24, v26, s[2:3]
	;; [unrolled: 2-line block ×4, first 2 shown]
	global_load_dword v11, v[9:10], off
	global_load_dword v31, v[27:28], off
	;; [unrolled: 1-line block ×4, first 2 shown]
	ds_read_b64 v[9:10], v8
	ds_read2_b32 v[25:26], v8 offset0:3 offset1:4
	v_add_u32_e32 v8, 24, v8
	s_waitcnt vmcnt(3) lgkmcnt(1)
	v_fmac_f32_e32 v22, v9, v11
	s_waitcnt vmcnt(2)
	v_fmac_f32_e32 v22, v10, v31
	s_waitcnt vmcnt(1) lgkmcnt(0)
	v_fmac_f32_e32 v22, v25, v32
	s_waitcnt vmcnt(0)
	v_fmac_f32_e32 v22, v26, v33
	s_cbranch_scc1 .LBB31_16
	s_branch .LBB31_11
.LBB31_17:                              ;   in Loop: Header=BB31_9 Depth=1
	s_or_b64 exec, exec, s[20:21]
.LBB31_18:                              ;   in Loop: Header=BB31_9 Depth=1
	s_or_b64 exec, exec, s[16:17]
	v_cmp_gt_i64_e32 vcc, s[18:19], v[4:5]
	s_and_saveexec_b64 s[2:3], vcc
	s_cbranch_execz .LBB31_8
; %bb.19:                               ;   in Loop: Header=BB31_9 Depth=1
	s_mov_b64 s[16:17], -1
	s_and_b64 vcc, exec, s[4:5]
	s_cbranch_vccz .LBB31_25
; %bb.20:                               ;   in Loop: Header=BB31_9 Depth=1
	s_and_b64 vcc, exec, s[8:9]
	s_cbranch_vccz .LBB31_22
; %bb.21:                               ;   in Loop: Header=BB31_9 Depth=1
	v_lshlrev_b64 v[6:7], 2, v[4:5]
	v_mul_f32_e32 v9, s24, v22
	v_add_co_u32_e32 v6, vcc, v19, v6
	v_addc_co_u32_e32 v7, vcc, v20, v7, vcc
	global_load_dword v8, v[6:7], off
	s_mov_b64 s[16:17], 0
	s_waitcnt vmcnt(0)
	v_fmac_f32_e32 v9, s26, v8
	global_store_dword v[6:7], v9, off
.LBB31_22:                              ;   in Loop: Header=BB31_9 Depth=1
	s_andn2_b64 vcc, exec, s[16:17]
	s_cbranch_vccnz .LBB31_24
; %bb.23:                               ;   in Loop: Header=BB31_9 Depth=1
	v_mul_lo_u32 v8, v5, s22
	v_mul_lo_u32 v9, v4, s23
	v_mad_u64_u32 v[6:7], s[16:17], v4, s22, 0
	v_add3_u32 v7, v7, v9, v8
	v_lshlrev_b64 v[6:7], 2, v[6:7]
	v_mul_f32_e32 v9, s24, v22
	v_add_co_u32_e32 v6, vcc, v15, v6
	v_addc_co_u32_e32 v7, vcc, v16, v7, vcc
	global_load_dword v8, v[6:7], off
	s_waitcnt vmcnt(0)
	v_fmac_f32_e32 v9, s26, v8
	global_store_dword v[6:7], v9, off
.LBB31_24:                              ;   in Loop: Header=BB31_9 Depth=1
	s_mov_b64 s[16:17], 0
.LBB31_25:                              ;   in Loop: Header=BB31_9 Depth=1
	s_andn2_b64 vcc, exec, s[16:17]
	s_cbranch_vccnz .LBB31_8
; %bb.26:                               ;   in Loop: Header=BB31_9 Depth=1
	v_mul_f32_e32 v6, s24, v22
	s_mov_b64 s[16:17], -1
	s_and_b64 vcc, exec, s[8:9]
	s_cbranch_vccz .LBB31_28
; %bb.27:                               ;   in Loop: Header=BB31_9 Depth=1
	v_lshlrev_b64 v[7:8], 2, v[4:5]
	s_mov_b64 s[16:17], 0
	v_add_co_u32_e32 v7, vcc, v19, v7
	v_addc_co_u32_e32 v8, vcc, v20, v8, vcc
	global_store_dword v[7:8], v6, off
.LBB31_28:                              ;   in Loop: Header=BB31_9 Depth=1
	s_andn2_b64 vcc, exec, s[16:17]
	s_cbranch_vccnz .LBB31_8
; %bb.29:                               ;   in Loop: Header=BB31_9 Depth=1
	v_mul_lo_u32 v7, v5, s22
	v_mul_lo_u32 v8, v4, s23
	v_mad_u64_u32 v[4:5], s[16:17], v4, s22, 0
	v_add3_u32 v5, v5, v8, v7
	v_lshlrev_b64 v[4:5], 2, v[4:5]
	v_add_co_u32_e32 v4, vcc, v15, v4
	v_addc_co_u32_e32 v5, vcc, v16, v5, vcc
	global_store_dword v[4:5], v6, off
	s_branch .LBB31_8
.LBB31_30:
	s_endpgm
	.section	.rodata,"a",@progbits
	.p2align	6, 0x0
	.amdhsa_kernel _ZN9rocsparseL29bsrmmnt_small_blockdim_kernelILj64ELj32ELj2EllffffEEv20rocsparse_direction_T3_S2_llNS_24const_host_device_scalarIT7_EEPKT2_PKS2_PKT4_PKT5_llS5_PT6_ll16rocsparse_order_21rocsparse_index_base_b
		.amdhsa_group_segment_fixed_size 1280
		.amdhsa_private_segment_fixed_size 0
		.amdhsa_kernarg_size 400
		.amdhsa_user_sgpr_count 6
		.amdhsa_user_sgpr_private_segment_buffer 1
		.amdhsa_user_sgpr_dispatch_ptr 0
		.amdhsa_user_sgpr_queue_ptr 0
		.amdhsa_user_sgpr_kernarg_segment_ptr 1
		.amdhsa_user_sgpr_dispatch_id 0
		.amdhsa_user_sgpr_flat_scratch_init 0
		.amdhsa_user_sgpr_private_segment_size 0
		.amdhsa_uses_dynamic_stack 0
		.amdhsa_system_sgpr_private_segment_wavefront_offset 0
		.amdhsa_system_sgpr_workgroup_id_x 1
		.amdhsa_system_sgpr_workgroup_id_y 0
		.amdhsa_system_sgpr_workgroup_id_z 0
		.amdhsa_system_sgpr_workgroup_info 0
		.amdhsa_system_vgpr_workitem_id 0
		.amdhsa_next_free_vgpr 34
		.amdhsa_next_free_sgpr 36
		.amdhsa_reserve_vcc 1
		.amdhsa_reserve_flat_scratch 0
		.amdhsa_float_round_mode_32 0
		.amdhsa_float_round_mode_16_64 0
		.amdhsa_float_denorm_mode_32 3
		.amdhsa_float_denorm_mode_16_64 3
		.amdhsa_dx10_clamp 1
		.amdhsa_ieee_mode 1
		.amdhsa_fp16_overflow 0
		.amdhsa_exception_fp_ieee_invalid_op 0
		.amdhsa_exception_fp_denorm_src 0
		.amdhsa_exception_fp_ieee_div_zero 0
		.amdhsa_exception_fp_ieee_overflow 0
		.amdhsa_exception_fp_ieee_underflow 0
		.amdhsa_exception_fp_ieee_inexact 0
		.amdhsa_exception_int_div_zero 0
	.end_amdhsa_kernel
	.section	.text._ZN9rocsparseL29bsrmmnt_small_blockdim_kernelILj64ELj32ELj2EllffffEEv20rocsparse_direction_T3_S2_llNS_24const_host_device_scalarIT7_EEPKT2_PKS2_PKT4_PKT5_llS5_PT6_ll16rocsparse_order_21rocsparse_index_base_b,"axG",@progbits,_ZN9rocsparseL29bsrmmnt_small_blockdim_kernelILj64ELj32ELj2EllffffEEv20rocsparse_direction_T3_S2_llNS_24const_host_device_scalarIT7_EEPKT2_PKS2_PKT4_PKT5_llS5_PT6_ll16rocsparse_order_21rocsparse_index_base_b,comdat
.Lfunc_end31:
	.size	_ZN9rocsparseL29bsrmmnt_small_blockdim_kernelILj64ELj32ELj2EllffffEEv20rocsparse_direction_T3_S2_llNS_24const_host_device_scalarIT7_EEPKT2_PKS2_PKT4_PKT5_llS5_PT6_ll16rocsparse_order_21rocsparse_index_base_b, .Lfunc_end31-_ZN9rocsparseL29bsrmmnt_small_blockdim_kernelILj64ELj32ELj2EllffffEEv20rocsparse_direction_T3_S2_llNS_24const_host_device_scalarIT7_EEPKT2_PKS2_PKT4_PKT5_llS5_PT6_ll16rocsparse_order_21rocsparse_index_base_b
                                        ; -- End function
	.set _ZN9rocsparseL29bsrmmnt_small_blockdim_kernelILj64ELj32ELj2EllffffEEv20rocsparse_direction_T3_S2_llNS_24const_host_device_scalarIT7_EEPKT2_PKS2_PKT4_PKT5_llS5_PT6_ll16rocsparse_order_21rocsparse_index_base_b.num_vgpr, 34
	.set _ZN9rocsparseL29bsrmmnt_small_blockdim_kernelILj64ELj32ELj2EllffffEEv20rocsparse_direction_T3_S2_llNS_24const_host_device_scalarIT7_EEPKT2_PKS2_PKT4_PKT5_llS5_PT6_ll16rocsparse_order_21rocsparse_index_base_b.num_agpr, 0
	.set _ZN9rocsparseL29bsrmmnt_small_blockdim_kernelILj64ELj32ELj2EllffffEEv20rocsparse_direction_T3_S2_llNS_24const_host_device_scalarIT7_EEPKT2_PKS2_PKT4_PKT5_llS5_PT6_ll16rocsparse_order_21rocsparse_index_base_b.numbered_sgpr, 36
	.set _ZN9rocsparseL29bsrmmnt_small_blockdim_kernelILj64ELj32ELj2EllffffEEv20rocsparse_direction_T3_S2_llNS_24const_host_device_scalarIT7_EEPKT2_PKS2_PKT4_PKT5_llS5_PT6_ll16rocsparse_order_21rocsparse_index_base_b.num_named_barrier, 0
	.set _ZN9rocsparseL29bsrmmnt_small_blockdim_kernelILj64ELj32ELj2EllffffEEv20rocsparse_direction_T3_S2_llNS_24const_host_device_scalarIT7_EEPKT2_PKS2_PKT4_PKT5_llS5_PT6_ll16rocsparse_order_21rocsparse_index_base_b.private_seg_size, 0
	.set _ZN9rocsparseL29bsrmmnt_small_blockdim_kernelILj64ELj32ELj2EllffffEEv20rocsparse_direction_T3_S2_llNS_24const_host_device_scalarIT7_EEPKT2_PKS2_PKT4_PKT5_llS5_PT6_ll16rocsparse_order_21rocsparse_index_base_b.uses_vcc, 1
	.set _ZN9rocsparseL29bsrmmnt_small_blockdim_kernelILj64ELj32ELj2EllffffEEv20rocsparse_direction_T3_S2_llNS_24const_host_device_scalarIT7_EEPKT2_PKS2_PKT4_PKT5_llS5_PT6_ll16rocsparse_order_21rocsparse_index_base_b.uses_flat_scratch, 0
	.set _ZN9rocsparseL29bsrmmnt_small_blockdim_kernelILj64ELj32ELj2EllffffEEv20rocsparse_direction_T3_S2_llNS_24const_host_device_scalarIT7_EEPKT2_PKS2_PKT4_PKT5_llS5_PT6_ll16rocsparse_order_21rocsparse_index_base_b.has_dyn_sized_stack, 0
	.set _ZN9rocsparseL29bsrmmnt_small_blockdim_kernelILj64ELj32ELj2EllffffEEv20rocsparse_direction_T3_S2_llNS_24const_host_device_scalarIT7_EEPKT2_PKS2_PKT4_PKT5_llS5_PT6_ll16rocsparse_order_21rocsparse_index_base_b.has_recursion, 0
	.set _ZN9rocsparseL29bsrmmnt_small_blockdim_kernelILj64ELj32ELj2EllffffEEv20rocsparse_direction_T3_S2_llNS_24const_host_device_scalarIT7_EEPKT2_PKS2_PKT4_PKT5_llS5_PT6_ll16rocsparse_order_21rocsparse_index_base_b.has_indirect_call, 0
	.section	.AMDGPU.csdata,"",@progbits
; Kernel info:
; codeLenInByte = 1356
; TotalNumSgprs: 40
; NumVgprs: 34
; ScratchSize: 0
; MemoryBound: 0
; FloatMode: 240
; IeeeMode: 1
; LDSByteSize: 1280 bytes/workgroup (compile time only)
; SGPRBlocks: 4
; VGPRBlocks: 8
; NumSGPRsForWavesPerEU: 40
; NumVGPRsForWavesPerEU: 34
; Occupancy: 7
; WaveLimiterHint : 1
; COMPUTE_PGM_RSRC2:SCRATCH_EN: 0
; COMPUTE_PGM_RSRC2:USER_SGPR: 6
; COMPUTE_PGM_RSRC2:TRAP_HANDLER: 0
; COMPUTE_PGM_RSRC2:TGID_X_EN: 1
; COMPUTE_PGM_RSRC2:TGID_Y_EN: 0
; COMPUTE_PGM_RSRC2:TGID_Z_EN: 0
; COMPUTE_PGM_RSRC2:TIDIG_COMP_CNT: 0
	.section	.text._ZN9rocsparseL29bsrmmnt_small_blockdim_kernelILj64ELj64ELj2EllffffEEv20rocsparse_direction_T3_S2_llNS_24const_host_device_scalarIT7_EEPKT2_PKS2_PKT4_PKT5_llS5_PT6_ll16rocsparse_order_21rocsparse_index_base_b,"axG",@progbits,_ZN9rocsparseL29bsrmmnt_small_blockdim_kernelILj64ELj64ELj2EllffffEEv20rocsparse_direction_T3_S2_llNS_24const_host_device_scalarIT7_EEPKT2_PKS2_PKT4_PKT5_llS5_PT6_ll16rocsparse_order_21rocsparse_index_base_b,comdat
	.globl	_ZN9rocsparseL29bsrmmnt_small_blockdim_kernelILj64ELj64ELj2EllffffEEv20rocsparse_direction_T3_S2_llNS_24const_host_device_scalarIT7_EEPKT2_PKS2_PKT4_PKT5_llS5_PT6_ll16rocsparse_order_21rocsparse_index_base_b ; -- Begin function _ZN9rocsparseL29bsrmmnt_small_blockdim_kernelILj64ELj64ELj2EllffffEEv20rocsparse_direction_T3_S2_llNS_24const_host_device_scalarIT7_EEPKT2_PKS2_PKT4_PKT5_llS5_PT6_ll16rocsparse_order_21rocsparse_index_base_b
	.p2align	8
	.type	_ZN9rocsparseL29bsrmmnt_small_blockdim_kernelILj64ELj64ELj2EllffffEEv20rocsparse_direction_T3_S2_llNS_24const_host_device_scalarIT7_EEPKT2_PKS2_PKT4_PKT5_llS5_PT6_ll16rocsparse_order_21rocsparse_index_base_b,@function
_ZN9rocsparseL29bsrmmnt_small_blockdim_kernelILj64ELj64ELj2EllffffEEv20rocsparse_direction_T3_S2_llNS_24const_host_device_scalarIT7_EEPKT2_PKS2_PKT4_PKT5_llS5_PT6_ll16rocsparse_order_21rocsparse_index_base_b: ; @_ZN9rocsparseL29bsrmmnt_small_blockdim_kernelILj64ELj64ELj2EllffffEEv20rocsparse_direction_T3_S2_llNS_24const_host_device_scalarIT7_EEPKT2_PKS2_PKT4_PKT5_llS5_PT6_ll16rocsparse_order_21rocsparse_index_base_b
; %bb.0:
	s_load_dwordx4 s[0:3], s[4:5], 0x80
	s_load_dwordx2 s[24:25], s[4:5], 0x28
	s_load_dwordx2 s[26:27], s[4:5], 0x60
	s_waitcnt lgkmcnt(0)
	s_bitcmp1_b32 s2, 0
	s_cselect_b64 s[8:9], -1, 0
	s_xor_b64 s[2:3], s[8:9], -1
	s_and_b64 vcc, exec, s[8:9]
	s_cbranch_vccnz .LBB32_2
; %bb.1:
	s_load_dword s24, s[24:25], 0x0
.LBB32_2:
	s_andn2_b64 vcc, exec, s[2:3]
	s_cbranch_vccnz .LBB32_4
; %bb.3:
	s_load_dword s26, s[26:27], 0x0
.LBB32_4:
	s_waitcnt lgkmcnt(0)
	v_cmp_eq_f32_e64 s[2:3], s24, 0
	v_cmp_eq_f32_e64 s[8:9], s26, 1.0
	s_and_b64 s[2:3], s[2:3], s[8:9]
	s_and_b64 vcc, exec, s[2:3]
	s_cbranch_vccnz .LBB32_30
; %bb.5:
	s_load_dword s2, s[4:5], 0x9c
	s_load_dwordx4 s[16:19], s[4:5], 0x8
	v_mov_b32_e32 v2, 0
	s_waitcnt lgkmcnt(0)
	s_and_b32 s2, s2, 0xffff
	s_mul_i32 s6, s6, s2
	v_add_u32_e32 v3, s6, v0
	v_lshrrev_b32_e32 v1, 7, v3
	v_cmp_gt_i64_e32 vcc, s[16:17], v[1:2]
	s_and_saveexec_b64 s[2:3], vcc
	s_cbranch_execz .LBB32_30
; %bb.6:
	v_cmp_lt_i64_e64 s[2:3], s[18:19], 1
	s_and_b64 vcc, exec, s[2:3]
	s_cbranch_vccnz .LBB32_30
; %bb.7:
	s_load_dwordx8 s[8:15], s[4:5], 0x30
	v_lshlrev_b32_e32 v1, 3, v1
	v_lshrrev_b32_e32 v3, 6, v3
	s_cmp_lg_u32 s0, 1
	v_lshlrev_b32_e32 v4, 2, v3
	s_waitcnt lgkmcnt(0)
	global_load_dwordx4 v[5:8], v1, s[8:9]
	s_load_dword s2, s[4:5], 0x0
	s_load_dwordx4 s[20:23], s[4:5], 0x68
	s_load_dwordx2 s[6:7], s[4:5], 0x50
	s_cselect_b64 s[8:9], -1, 0
	v_and_b32_e32 v9, 4, v4
	s_waitcnt lgkmcnt(0)
	s_cmp_eq_u32 s2, 0
	v_mad_u64_u32 v[1:2], s[2:3], v3, s22, 0
	v_mov_b32_e32 v10, s13
	v_add_co_u32_e32 v19, vcc, s12, v9
	v_addc_co_u32_e32 v10, vcc, 0, v10, vcc
	v_mad_u64_u32 v[2:3], s[2:3], v3, s23, v[2:3]
	v_mov_b32_e32 v12, s21
	v_add_co_u32_e32 v16, vcc, s20, v4
	v_addc_co_u32_e32 v17, vcc, 0, v12, vcc
	v_add_co_u32_e32 v4, vcc, v19, v9
	v_addc_co_u32_e32 v9, vcc, 0, v10, vcc
	v_lshlrev_b64 v[1:2], 2, v[1:2]
	s_cselect_b64 vcc, -1, 0
	v_mov_b32_e32 v11, s21
	v_cndmask_b32_e32 v18, v10, v9, vcc
	v_cndmask_b32_e32 v19, v19, v4, vcc
	s_and_b64 s[2:3], vcc, exec
	v_add_co_u32_e32 v20, vcc, s20, v1
	v_addc_co_u32_e32 v21, vcc, v11, v2, vcc
	s_mov_b32 s25, s1
	v_mov_b32_e32 v13, 0x300
	v_mul_u32_u24_e32 v14, 12, v0
	v_cmp_neq_f32_e64 s[4:5], s26, 0
	v_lshl_add_u32 v15, v0, 3, v13
	s_cselect_b32 s27, 4, 8
	s_mov_b64 s[12:13], 0
	s_waitcnt vmcnt(0)
	v_subrev_co_u32_e32 v1, vcc, s1, v5
	v_subbrev_co_u32_e32 v2, vcc, 0, v6, vcc
	v_subrev_co_u32_e32 v3, vcc, s1, v7
	v_cmp_lt_i64_e64 s[0:1], v[5:6], v[7:8]
	v_subbrev_co_u32_e32 v4, vcc, 0, v8, vcc
	s_branch .LBB32_9
.LBB32_8:                               ;   in Loop: Header=BB32_9 Depth=1
	s_or_b64 exec, exec, s[2:3]
	s_add_u32 s12, s12, 64
	v_mov_b32_e32 v5, s18
	s_addc_u32 s13, s13, 0
	v_mov_b32_e32 v6, s19
	v_cmp_lt_i64_e32 vcc, s[12:13], v[5:6]
	s_cbranch_vccz .LBB32_30
.LBB32_9:                               ; =>This Loop Header: Depth=1
                                        ;     Child Loop BB32_12 Depth 2
                                        ;       Child Loop BB32_16 Depth 3
	v_mov_b32_e32 v6, s13
	v_or_b32_e32 v5, s12, v0
	v_mov_b32_e32 v22, 0
	s_and_saveexec_b64 s[16:17], s[0:1]
	s_cbranch_execz .LBB32_18
; %bb.10:                               ;   in Loop: Header=BB32_9 Depth=1
	v_lshlrev_b64 v[7:8], 2, v[5:6]
	v_mov_b32_e32 v9, s15
	v_add_co_u32_e64 v23, s[2:3], s14, v7
	v_cmp_gt_i64_e32 vcc, s[18:19], v[5:6]
	v_addc_co_u32_e64 v24, s[2:3], v9, v8, s[2:3]
	v_mov_b32_e32 v8, v2
	v_mov_b32_e32 v22, 0
	s_mov_b64 s[20:21], 0
	v_mov_b32_e32 v7, v1
	s_branch .LBB32_12
.LBB32_11:                              ;   in Loop: Header=BB32_12 Depth=2
	s_or_b64 exec, exec, s[28:29]
	v_add_co_u32_e64 v7, s[2:3], 64, v7
	v_addc_co_u32_e64 v8, s[2:3], 0, v8, s[2:3]
	v_cmp_ge_i64_e64 s[2:3], v[7:8], v[3:4]
	s_or_b64 s[20:21], s[2:3], s[20:21]
	s_andn2_b64 exec, exec, s[20:21]
	s_cbranch_execz .LBB32_17
.LBB32_12:                              ;   Parent Loop BB32_9 Depth=1
                                        ; =>  This Loop Header: Depth=2
                                        ;       Child Loop BB32_16 Depth 3
	v_add_co_u32_e64 v9, s[2:3], v7, v0
	v_addc_co_u32_e64 v10, s[2:3], 0, v8, s[2:3]
	v_cmp_lt_i64_e64 s[2:3], v[9:10], v[3:4]
	v_mov_b32_e32 v11, 0
	v_mov_b32_e32 v12, 0
	;; [unrolled: 1-line block ×4, first 2 shown]
	s_and_saveexec_b64 s[28:29], s[2:3]
	s_cbranch_execz .LBB32_14
; %bb.13:                               ;   in Loop: Header=BB32_12 Depth=2
	v_lshlrev_b64 v[11:12], 3, v[9:10]
	v_mov_b32_e32 v25, s11
	v_add_co_u32_e64 v11, s[2:3], s10, v11
	v_addc_co_u32_e64 v12, s[2:3], v25, v12, s[2:3]
	v_lshlrev_b64 v[9:10], 4, v[9:10]
	global_load_dwordx2 v[11:12], v[11:12], off
	v_add_co_u32_e64 v9, s[2:3], v19, v9
	v_addc_co_u32_e64 v10, s[2:3], v18, v10, s[2:3]
	v_add_co_u32_e64 v27, s[2:3], s27, v9
	v_addc_co_u32_e64 v28, s[2:3], 0, v10, s[2:3]
	global_load_dword v25, v[9:10], off
	global_load_dword v26, v[27:28], off
	s_waitcnt vmcnt(2)
	v_subrev_co_u32_e64 v9, s[2:3], s25, v11
	v_subbrev_co_u32_e64 v10, s[2:3], 0, v12, s[2:3]
	v_lshlrev_b64 v[11:12], 1, v[9:10]
.LBB32_14:                              ;   in Loop: Header=BB32_12 Depth=2
	s_or_b64 exec, exec, s[28:29]
	ds_write_b64 v15, v[11:12]
	s_waitcnt vmcnt(0)
	ds_write2_b32 v14, v25, v26 offset1:1
	s_waitcnt lgkmcnt(0)
	; wave barrier
	s_and_saveexec_b64 s[28:29], vcc
	s_cbranch_execz .LBB32_11
; %bb.15:                               ;   in Loop: Header=BB32_12 Depth=2
	s_mov_b32 s30, 0
	v_mov_b32_e32 v9, 0
.LBB32_16:                              ;   Parent Loop BB32_9 Depth=1
                                        ;     Parent Loop BB32_12 Depth=2
                                        ; =>    This Inner Loop Header: Depth=3
	v_add_u32_e32 v10, s30, v13
	ds_read_b128 v[25:28], v10
	s_lshl_b64 s[34:35], s[6:7], 2
	v_mov_b32_e32 v12, s35
	s_add_i32 s30, s30, 16
	s_cmpk_lg_i32 s30, 0x200
	s_waitcnt lgkmcnt(0)
	v_mul_lo_u32 v29, v26, s6
	v_mul_lo_u32 v30, v25, s7
	v_mad_u64_u32 v[10:11], s[2:3], v25, s6, 0
	v_mul_lo_u32 v28, v28, s6
	v_mul_lo_u32 v31, v27, s7
	v_mad_u64_u32 v[25:26], s[2:3], v27, s6, 0
	v_add3_u32 v11, v11, v30, v29
	v_lshlrev_b64 v[10:11], 2, v[10:11]
	v_add3_u32 v26, v26, v31, v28
	v_lshlrev_b64 v[25:26], 2, v[25:26]
	v_add_co_u32_e64 v10, s[2:3], v23, v10
	v_addc_co_u32_e64 v11, s[2:3], v24, v11, s[2:3]
	v_add_co_u32_e64 v25, s[2:3], v23, v25
	v_addc_co_u32_e64 v26, s[2:3], v24, v26, s[2:3]
	;; [unrolled: 2-line block ×4, first 2 shown]
	global_load_dword v12, v[10:11], off
	global_load_dword v31, v[27:28], off
	;; [unrolled: 1-line block ×4, first 2 shown]
	ds_read_b64 v[10:11], v9
	ds_read2_b32 v[25:26], v9 offset0:3 offset1:4
	v_add_u32_e32 v9, 24, v9
	s_waitcnt vmcnt(3) lgkmcnt(1)
	v_fmac_f32_e32 v22, v10, v12
	s_waitcnt vmcnt(2)
	v_fmac_f32_e32 v22, v11, v31
	s_waitcnt vmcnt(1) lgkmcnt(0)
	v_fmac_f32_e32 v22, v25, v32
	s_waitcnt vmcnt(0)
	v_fmac_f32_e32 v22, v26, v33
	s_cbranch_scc1 .LBB32_16
	s_branch .LBB32_11
.LBB32_17:                              ;   in Loop: Header=BB32_9 Depth=1
	s_or_b64 exec, exec, s[20:21]
.LBB32_18:                              ;   in Loop: Header=BB32_9 Depth=1
	s_or_b64 exec, exec, s[16:17]
	v_cmp_gt_i64_e32 vcc, s[18:19], v[5:6]
	s_and_saveexec_b64 s[2:3], vcc
	s_cbranch_execz .LBB32_8
; %bb.19:                               ;   in Loop: Header=BB32_9 Depth=1
	s_mov_b64 s[16:17], -1
	s_and_b64 vcc, exec, s[4:5]
	s_cbranch_vccz .LBB32_25
; %bb.20:                               ;   in Loop: Header=BB32_9 Depth=1
	s_and_b64 vcc, exec, s[8:9]
	s_cbranch_vccz .LBB32_22
; %bb.21:                               ;   in Loop: Header=BB32_9 Depth=1
	v_lshlrev_b64 v[7:8], 2, v[5:6]
	v_mul_f32_e32 v10, s24, v22
	v_add_co_u32_e32 v7, vcc, v20, v7
	v_addc_co_u32_e32 v8, vcc, v21, v8, vcc
	global_load_dword v9, v[7:8], off
	s_mov_b64 s[16:17], 0
	s_waitcnt vmcnt(0)
	v_fmac_f32_e32 v10, s26, v9
	global_store_dword v[7:8], v10, off
.LBB32_22:                              ;   in Loop: Header=BB32_9 Depth=1
	s_andn2_b64 vcc, exec, s[16:17]
	s_cbranch_vccnz .LBB32_24
; %bb.23:                               ;   in Loop: Header=BB32_9 Depth=1
	v_mul_lo_u32 v9, v6, s22
	v_mul_lo_u32 v10, v5, s23
	v_mad_u64_u32 v[7:8], s[16:17], v5, s22, 0
	v_add3_u32 v8, v8, v10, v9
	v_lshlrev_b64 v[7:8], 2, v[7:8]
	v_mul_f32_e32 v10, s24, v22
	v_add_co_u32_e32 v7, vcc, v16, v7
	v_addc_co_u32_e32 v8, vcc, v17, v8, vcc
	global_load_dword v9, v[7:8], off
	s_waitcnt vmcnt(0)
	v_fmac_f32_e32 v10, s26, v9
	global_store_dword v[7:8], v10, off
.LBB32_24:                              ;   in Loop: Header=BB32_9 Depth=1
	s_mov_b64 s[16:17], 0
.LBB32_25:                              ;   in Loop: Header=BB32_9 Depth=1
	s_andn2_b64 vcc, exec, s[16:17]
	s_cbranch_vccnz .LBB32_8
; %bb.26:                               ;   in Loop: Header=BB32_9 Depth=1
	v_mul_f32_e32 v7, s24, v22
	s_mov_b64 s[16:17], -1
	s_and_b64 vcc, exec, s[8:9]
	s_cbranch_vccz .LBB32_28
; %bb.27:                               ;   in Loop: Header=BB32_9 Depth=1
	v_lshlrev_b64 v[8:9], 2, v[5:6]
	s_mov_b64 s[16:17], 0
	v_add_co_u32_e32 v8, vcc, v20, v8
	v_addc_co_u32_e32 v9, vcc, v21, v9, vcc
	global_store_dword v[8:9], v7, off
.LBB32_28:                              ;   in Loop: Header=BB32_9 Depth=1
	s_andn2_b64 vcc, exec, s[16:17]
	s_cbranch_vccnz .LBB32_8
; %bb.29:                               ;   in Loop: Header=BB32_9 Depth=1
	v_mul_lo_u32 v8, v6, s22
	v_mul_lo_u32 v9, v5, s23
	v_mad_u64_u32 v[5:6], s[16:17], v5, s22, 0
	v_add3_u32 v6, v6, v9, v8
	v_lshlrev_b64 v[5:6], 2, v[5:6]
	v_add_co_u32_e32 v5, vcc, v16, v5
	v_addc_co_u32_e32 v6, vcc, v17, v6, vcc
	global_store_dword v[5:6], v7, off
	s_branch .LBB32_8
.LBB32_30:
	s_endpgm
	.section	.rodata,"a",@progbits
	.p2align	6, 0x0
	.amdhsa_kernel _ZN9rocsparseL29bsrmmnt_small_blockdim_kernelILj64ELj64ELj2EllffffEEv20rocsparse_direction_T3_S2_llNS_24const_host_device_scalarIT7_EEPKT2_PKS2_PKT4_PKT5_llS5_PT6_ll16rocsparse_order_21rocsparse_index_base_b
		.amdhsa_group_segment_fixed_size 1280
		.amdhsa_private_segment_fixed_size 0
		.amdhsa_kernarg_size 400
		.amdhsa_user_sgpr_count 6
		.amdhsa_user_sgpr_private_segment_buffer 1
		.amdhsa_user_sgpr_dispatch_ptr 0
		.amdhsa_user_sgpr_queue_ptr 0
		.amdhsa_user_sgpr_kernarg_segment_ptr 1
		.amdhsa_user_sgpr_dispatch_id 0
		.amdhsa_user_sgpr_flat_scratch_init 0
		.amdhsa_user_sgpr_private_segment_size 0
		.amdhsa_uses_dynamic_stack 0
		.amdhsa_system_sgpr_private_segment_wavefront_offset 0
		.amdhsa_system_sgpr_workgroup_id_x 1
		.amdhsa_system_sgpr_workgroup_id_y 0
		.amdhsa_system_sgpr_workgroup_id_z 0
		.amdhsa_system_sgpr_workgroup_info 0
		.amdhsa_system_vgpr_workitem_id 0
		.amdhsa_next_free_vgpr 34
		.amdhsa_next_free_sgpr 36
		.amdhsa_reserve_vcc 1
		.amdhsa_reserve_flat_scratch 0
		.amdhsa_float_round_mode_32 0
		.amdhsa_float_round_mode_16_64 0
		.amdhsa_float_denorm_mode_32 3
		.amdhsa_float_denorm_mode_16_64 3
		.amdhsa_dx10_clamp 1
		.amdhsa_ieee_mode 1
		.amdhsa_fp16_overflow 0
		.amdhsa_exception_fp_ieee_invalid_op 0
		.amdhsa_exception_fp_denorm_src 0
		.amdhsa_exception_fp_ieee_div_zero 0
		.amdhsa_exception_fp_ieee_overflow 0
		.amdhsa_exception_fp_ieee_underflow 0
		.amdhsa_exception_fp_ieee_inexact 0
		.amdhsa_exception_int_div_zero 0
	.end_amdhsa_kernel
	.section	.text._ZN9rocsparseL29bsrmmnt_small_blockdim_kernelILj64ELj64ELj2EllffffEEv20rocsparse_direction_T3_S2_llNS_24const_host_device_scalarIT7_EEPKT2_PKS2_PKT4_PKT5_llS5_PT6_ll16rocsparse_order_21rocsparse_index_base_b,"axG",@progbits,_ZN9rocsparseL29bsrmmnt_small_blockdim_kernelILj64ELj64ELj2EllffffEEv20rocsparse_direction_T3_S2_llNS_24const_host_device_scalarIT7_EEPKT2_PKS2_PKT4_PKT5_llS5_PT6_ll16rocsparse_order_21rocsparse_index_base_b,comdat
.Lfunc_end32:
	.size	_ZN9rocsparseL29bsrmmnt_small_blockdim_kernelILj64ELj64ELj2EllffffEEv20rocsparse_direction_T3_S2_llNS_24const_host_device_scalarIT7_EEPKT2_PKS2_PKT4_PKT5_llS5_PT6_ll16rocsparse_order_21rocsparse_index_base_b, .Lfunc_end32-_ZN9rocsparseL29bsrmmnt_small_blockdim_kernelILj64ELj64ELj2EllffffEEv20rocsparse_direction_T3_S2_llNS_24const_host_device_scalarIT7_EEPKT2_PKS2_PKT4_PKT5_llS5_PT6_ll16rocsparse_order_21rocsparse_index_base_b
                                        ; -- End function
	.set _ZN9rocsparseL29bsrmmnt_small_blockdim_kernelILj64ELj64ELj2EllffffEEv20rocsparse_direction_T3_S2_llNS_24const_host_device_scalarIT7_EEPKT2_PKS2_PKT4_PKT5_llS5_PT6_ll16rocsparse_order_21rocsparse_index_base_b.num_vgpr, 34
	.set _ZN9rocsparseL29bsrmmnt_small_blockdim_kernelILj64ELj64ELj2EllffffEEv20rocsparse_direction_T3_S2_llNS_24const_host_device_scalarIT7_EEPKT2_PKS2_PKT4_PKT5_llS5_PT6_ll16rocsparse_order_21rocsparse_index_base_b.num_agpr, 0
	.set _ZN9rocsparseL29bsrmmnt_small_blockdim_kernelILj64ELj64ELj2EllffffEEv20rocsparse_direction_T3_S2_llNS_24const_host_device_scalarIT7_EEPKT2_PKS2_PKT4_PKT5_llS5_PT6_ll16rocsparse_order_21rocsparse_index_base_b.numbered_sgpr, 36
	.set _ZN9rocsparseL29bsrmmnt_small_blockdim_kernelILj64ELj64ELj2EllffffEEv20rocsparse_direction_T3_S2_llNS_24const_host_device_scalarIT7_EEPKT2_PKS2_PKT4_PKT5_llS5_PT6_ll16rocsparse_order_21rocsparse_index_base_b.num_named_barrier, 0
	.set _ZN9rocsparseL29bsrmmnt_small_blockdim_kernelILj64ELj64ELj2EllffffEEv20rocsparse_direction_T3_S2_llNS_24const_host_device_scalarIT7_EEPKT2_PKS2_PKT4_PKT5_llS5_PT6_ll16rocsparse_order_21rocsparse_index_base_b.private_seg_size, 0
	.set _ZN9rocsparseL29bsrmmnt_small_blockdim_kernelILj64ELj64ELj2EllffffEEv20rocsparse_direction_T3_S2_llNS_24const_host_device_scalarIT7_EEPKT2_PKS2_PKT4_PKT5_llS5_PT6_ll16rocsparse_order_21rocsparse_index_base_b.uses_vcc, 1
	.set _ZN9rocsparseL29bsrmmnt_small_blockdim_kernelILj64ELj64ELj2EllffffEEv20rocsparse_direction_T3_S2_llNS_24const_host_device_scalarIT7_EEPKT2_PKS2_PKT4_PKT5_llS5_PT6_ll16rocsparse_order_21rocsparse_index_base_b.uses_flat_scratch, 0
	.set _ZN9rocsparseL29bsrmmnt_small_blockdim_kernelILj64ELj64ELj2EllffffEEv20rocsparse_direction_T3_S2_llNS_24const_host_device_scalarIT7_EEPKT2_PKS2_PKT4_PKT5_llS5_PT6_ll16rocsparse_order_21rocsparse_index_base_b.has_dyn_sized_stack, 0
	.set _ZN9rocsparseL29bsrmmnt_small_blockdim_kernelILj64ELj64ELj2EllffffEEv20rocsparse_direction_T3_S2_llNS_24const_host_device_scalarIT7_EEPKT2_PKS2_PKT4_PKT5_llS5_PT6_ll16rocsparse_order_21rocsparse_index_base_b.has_recursion, 0
	.set _ZN9rocsparseL29bsrmmnt_small_blockdim_kernelILj64ELj64ELj2EllffffEEv20rocsparse_direction_T3_S2_llNS_24const_host_device_scalarIT7_EEPKT2_PKS2_PKT4_PKT5_llS5_PT6_ll16rocsparse_order_21rocsparse_index_base_b.has_indirect_call, 0
	.section	.AMDGPU.csdata,"",@progbits
; Kernel info:
; codeLenInByte = 1328
; TotalNumSgprs: 40
; NumVgprs: 34
; ScratchSize: 0
; MemoryBound: 0
; FloatMode: 240
; IeeeMode: 1
; LDSByteSize: 1280 bytes/workgroup (compile time only)
; SGPRBlocks: 4
; VGPRBlocks: 8
; NumSGPRsForWavesPerEU: 40
; NumVGPRsForWavesPerEU: 34
; Occupancy: 7
; WaveLimiterHint : 1
; COMPUTE_PGM_RSRC2:SCRATCH_EN: 0
; COMPUTE_PGM_RSRC2:USER_SGPR: 6
; COMPUTE_PGM_RSRC2:TRAP_HANDLER: 0
; COMPUTE_PGM_RSRC2:TGID_X_EN: 1
; COMPUTE_PGM_RSRC2:TGID_Y_EN: 0
; COMPUTE_PGM_RSRC2:TGID_Z_EN: 0
; COMPUTE_PGM_RSRC2:TIDIG_COMP_CNT: 0
	.section	.text._ZN9rocsparseL29bsrmmnt_small_blockdim_kernelILj64ELj8ELj2EiiddddEEv20rocsparse_direction_T3_S2_llNS_24const_host_device_scalarIT7_EEPKT2_PKS2_PKT4_PKT5_llS5_PT6_ll16rocsparse_order_21rocsparse_index_base_b,"axG",@progbits,_ZN9rocsparseL29bsrmmnt_small_blockdim_kernelILj64ELj8ELj2EiiddddEEv20rocsparse_direction_T3_S2_llNS_24const_host_device_scalarIT7_EEPKT2_PKS2_PKT4_PKT5_llS5_PT6_ll16rocsparse_order_21rocsparse_index_base_b,comdat
	.globl	_ZN9rocsparseL29bsrmmnt_small_blockdim_kernelILj64ELj8ELj2EiiddddEEv20rocsparse_direction_T3_S2_llNS_24const_host_device_scalarIT7_EEPKT2_PKS2_PKT4_PKT5_llS5_PT6_ll16rocsparse_order_21rocsparse_index_base_b ; -- Begin function _ZN9rocsparseL29bsrmmnt_small_blockdim_kernelILj64ELj8ELj2EiiddddEEv20rocsparse_direction_T3_S2_llNS_24const_host_device_scalarIT7_EEPKT2_PKS2_PKT4_PKT5_llS5_PT6_ll16rocsparse_order_21rocsparse_index_base_b
	.p2align	8
	.type	_ZN9rocsparseL29bsrmmnt_small_blockdim_kernelILj64ELj8ELj2EiiddddEEv20rocsparse_direction_T3_S2_llNS_24const_host_device_scalarIT7_EEPKT2_PKS2_PKT4_PKT5_llS5_PT6_ll16rocsparse_order_21rocsparse_index_base_b,@function
_ZN9rocsparseL29bsrmmnt_small_blockdim_kernelILj64ELj8ELj2EiiddddEEv20rocsparse_direction_T3_S2_llNS_24const_host_device_scalarIT7_EEPKT2_PKS2_PKT4_PKT5_llS5_PT6_ll16rocsparse_order_21rocsparse_index_base_b: ; @_ZN9rocsparseL29bsrmmnt_small_blockdim_kernelILj64ELj8ELj2EiiddddEEv20rocsparse_direction_T3_S2_llNS_24const_host_device_scalarIT7_EEPKT2_PKS2_PKT4_PKT5_llS5_PT6_ll16rocsparse_order_21rocsparse_index_base_b
; %bb.0:
	s_load_dwordx4 s[16:19], s[4:5], 0x78
	s_load_dwordx2 s[8:9], s[4:5], 0x20
	s_load_dwordx2 s[0:1], s[4:5], 0x58
	s_waitcnt lgkmcnt(0)
	s_bitcmp1_b32 s18, 0
	s_cselect_b64 s[10:11], -1, 0
	v_mov_b32_e32 v1, s8
	s_xor_b64 s[2:3], s[10:11], -1
	s_and_b64 vcc, exec, s[10:11]
	v_mov_b32_e32 v2, s9
	s_cbranch_vccnz .LBB33_2
; %bb.1:
	v_mov_b32_e32 v1, s8
	v_mov_b32_e32 v2, s9
	flat_load_dwordx2 v[1:2], v[1:2]
.LBB33_2:
	v_mov_b32_e32 v4, s1
	s_andn2_b64 vcc, exec, s[2:3]
	v_mov_b32_e32 v3, s0
	s_cbranch_vccnz .LBB33_4
; %bb.3:
	v_mov_b32_e32 v4, s1
	v_mov_b32_e32 v3, s0
	flat_load_dwordx2 v[3:4], v[3:4]
.LBB33_4:
	s_waitcnt vmcnt(0) lgkmcnt(0)
	v_cmp_neq_f64_e32 vcc, 0, v[1:2]
	v_cmp_neq_f64_e64 s[0:1], 1.0, v[3:4]
	s_or_b64 s[0:1], vcc, s[0:1]
	s_and_saveexec_b64 s[2:3], s[0:1]
	s_cbranch_execz .LBB33_29
; %bb.5:
	s_load_dword s0, s[4:5], 0x94
	s_load_dwordx4 s[20:23], s[4:5], 0x0
	s_waitcnt lgkmcnt(0)
	s_and_b32 s0, s0, 0xffff
	s_mul_i32 s6, s6, s0
	v_add_u32_e32 v5, s6, v0
	v_lshrrev_b32_e32 v6, 4, v5
	v_cmp_gt_i32_e32 vcc, s21, v6
	s_and_b64 exec, exec, vcc
	s_cbranch_execz .LBB33_29
; %bb.6:
	s_cmp_lt_i32 s22, 1
	s_cbranch_scc1 .LBB33_29
; %bb.7:
	s_load_dwordx8 s[8:15], s[4:5], 0x28
	v_lshlrev_b32_e32 v6, 2, v6
	v_bfe_u32 v9, v5, 3, 1
	s_cmp_eq_u32 s20, 0
	v_lshrrev_b32_e32 v11, 3, v5
	s_waitcnt lgkmcnt(0)
	global_load_dwordx2 v[7:8], v6, s[8:9]
	s_load_dwordx4 s[24:27], s[4:5], 0x60
	s_load_dwordx2 s[6:7], s[4:5], 0x48
	v_and_b32_e32 v16, 7, v0
	v_lshrrev_b32_e32 v10, 3, v0
	v_mov_b32_e32 v0, 0x600
	v_lshlrev_b32_e32 v13, 1, v9
	s_cselect_b64 vcc, -1, 0
	v_and_b32_e32 v12, -8, v5
	v_or_b32_e32 v5, 2, v9
	v_lshl_or_b32 v0, v10, 5, v0
	v_mul_u32_u24_e32 v17, 0xc0, v10
	v_cndmask_b32_e32 v19, v9, v13, vcc
	s_waitcnt lgkmcnt(0)
	v_mad_u64_u32 v[9:10], s[2:3], s26, v11, 0
	v_or_b32_e32 v15, 1, v13
	v_mov_b32_e32 v6, 0
	v_cndmask_b32_e32 v20, v5, v15, vcc
	v_mov_b32_e32 v5, v10
	v_cmp_neq_f64_e64 s[0:1], 0, v[3:4]
	v_mad_u64_u32 v[10:11], s[2:3], s27, v11, v[5:6]
	v_mov_b32_e32 v15, s25
	v_add_co_u32_e32 v21, vcc, s24, v12
	v_lshlrev_b64 v[9:10], 3, v[9:10]
	v_addc_co_u32_e32 v22, vcc, 0, v15, vcc
	v_mul_u32_u24_e32 v14, 24, v16
	s_cmp_lg_u32 s16, 1
	v_mov_b32_e32 v13, s25
	v_add_co_u32_e32 v23, vcc, s24, v9
	s_mov_b32 s23, 0
	v_lshl_or_b32 v18, v16, 2, v0
	s_cselect_b64 s[8:9], -1, 0
	v_addc_co_u32_e32 v24, vcc, v13, v10, vcc
	v_add_u32_e32 v27, v17, v14
	s_waitcnt vmcnt(0)
	v_subrev_u32_e32 v25, s17, v7
	v_subrev_u32_e32 v26, s17, v8
	v_cmp_lt_i32_e64 s[2:3], v7, v8
	s_branch .LBB33_9
.LBB33_8:                               ;   in Loop: Header=BB33_9 Depth=1
	s_or_b64 exec, exec, s[4:5]
	s_add_i32 s23, s23, 8
	s_cmp_lt_i32 s23, s22
	s_cbranch_scc0 .LBB33_29
.LBB33_9:                               ; =>This Loop Header: Depth=1
                                        ;     Child Loop BB33_12 Depth 2
                                        ;       Child Loop BB33_16 Depth 3
	v_or_b32_e32 v7, s23, v16
	v_mov_b32_e32 v9, 0
	v_mov_b32_e32 v10, 0
	v_ashrrev_i32_e32 v8, 31, v7
	s_and_saveexec_b64 s[18:19], s[2:3]
	s_cbranch_execz .LBB33_18
; %bb.10:                               ;   in Loop: Header=BB33_9 Depth=1
	v_lshlrev_b64 v[9:10], 3, v[7:8]
	v_mov_b32_e32 v5, s15
	v_add_co_u32_e64 v28, s[4:5], s14, v9
	v_addc_co_u32_e64 v29, s[4:5], v5, v10, s[4:5]
	v_mov_b32_e32 v9, 0
	v_cmp_gt_i32_e32 vcc, s22, v7
	v_mov_b32_e32 v10, 0
	s_mov_b64 s[20:21], 0
	v_mov_b32_e32 v30, v25
	s_branch .LBB33_12
.LBB33_11:                              ;   in Loop: Header=BB33_12 Depth=2
	s_or_b64 exec, exec, s[24:25]
	v_add_u32_e32 v30, 8, v30
	v_cmp_ge_i32_e64 s[4:5], v30, v26
	s_or_b64 s[20:21], s[4:5], s[20:21]
	s_andn2_b64 exec, exec, s[20:21]
	s_cbranch_execz .LBB33_17
.LBB33_12:                              ;   Parent Loop BB33_9 Depth=1
                                        ; =>  This Loop Header: Depth=2
                                        ;       Child Loop BB33_16 Depth 3
	v_add_u32_e32 v13, v30, v16
	v_mov_b32_e32 v11, 0
	v_mov_b32_e32 v14, 0
	v_cmp_lt_i32_e64 s[4:5], v13, v26
	v_mov_b32_e32 v12, 0
	v_mov_b32_e32 v15, 0
	v_mov_b32_e32 v5, 0
	s_and_saveexec_b64 s[24:25], s[4:5]
	s_cbranch_execz .LBB33_14
; %bb.13:                               ;   in Loop: Header=BB33_12 Depth=2
	v_ashrrev_i32_e32 v14, 31, v13
	v_lshlrev_b64 v[11:12], 2, v[13:14]
	v_mov_b32_e32 v5, s11
	v_add_co_u32_e64 v11, s[4:5], s10, v11
	v_lshlrev_b32_e32 v13, 2, v13
	v_addc_co_u32_e64 v12, s[4:5], v5, v12, s[4:5]
	v_or_b32_e32 v5, v13, v19
	global_load_dword v35, v[11:12], off
	v_lshlrev_b64 v[11:12], 3, v[5:6]
	v_mov_b32_e32 v5, s13
	v_add_co_u32_e64 v31, s[4:5], s12, v11
	v_addc_co_u32_e64 v32, s[4:5], v5, v12, s[4:5]
	v_or_b32_e32 v5, v13, v20
	v_lshlrev_b64 v[11:12], 3, v[5:6]
	v_mov_b32_e32 v5, s13
	v_add_co_u32_e64 v33, s[4:5], s12, v11
	v_addc_co_u32_e64 v34, s[4:5], v5, v12, s[4:5]
	global_load_dwordx2 v[11:12], v[31:32], off
	global_load_dwordx2 v[14:15], v[33:34], off
	s_waitcnt vmcnt(2)
	v_subrev_u32_e32 v5, s17, v35
	v_lshlrev_b32_e32 v5, 1, v5
.LBB33_14:                              ;   in Loop: Header=BB33_12 Depth=2
	s_or_b64 exec, exec, s[24:25]
	ds_write_b32 v18, v5
	s_waitcnt vmcnt(0)
	ds_write2_b64 v27, v[11:12], v[14:15] offset1:1
	s_waitcnt lgkmcnt(0)
	; wave barrier
	s_and_saveexec_b64 s[24:25], vcc
	s_cbranch_execz .LBB33_11
; %bb.15:                               ;   in Loop: Header=BB33_12 Depth=2
	s_mov_b32 s16, 0
	v_mov_b32_e32 v5, v17
.LBB33_16:                              ;   Parent Loop BB33_9 Depth=1
                                        ;     Parent Loop BB33_12 Depth=2
                                        ; =>    This Inner Loop Header: Depth=3
	v_add_u32_e32 v11, s16, v0
	ds_read_b64 v[11:12], v11
	s_add_i32 s16, s16, 8
	s_cmp_lg_u32 s16, 32
	s_waitcnt lgkmcnt(0)
	v_ashrrev_i32_e32 v15, 31, v11
	v_mul_lo_u32 v33, s7, v11
	v_mad_u64_u32 v[13:14], s[4:5], s6, v11, 0
	v_mul_lo_u32 v15, s6, v15
	v_add_u32_e32 v11, 1, v11
	v_ashrrev_i32_e32 v34, 31, v12
	v_mul_lo_u32 v39, s7, v12
	v_add3_u32 v14, v14, v15, v33
	v_lshlrev_b64 v[13:14], 3, v[13:14]
	v_mad_u64_u32 v[31:32], s[4:5], s6, v12, 0
	v_add_u32_e32 v37, 1, v12
	v_ashrrev_i32_e32 v35, 31, v11
	v_mul_lo_u32 v38, s7, v11
	v_mad_u64_u32 v[11:12], s[4:5], s6, v11, 0
	v_add_co_u32_e64 v13, s[4:5], v28, v13
	v_mul_lo_u32 v42, s6, v35
	v_addc_co_u32_e64 v14, s[4:5], v29, v14, s[4:5]
	global_load_dwordx2 v[35:36], v[13:14], off
	v_add3_u32 v12, v12, v42, v38
	v_lshlrev_b64 v[11:12], 3, v[11:12]
	v_mad_u64_u32 v[13:14], s[4:5], s6, v37, 0
	v_add_co_u32_e64 v11, s[4:5], v28, v11
	v_mul_lo_u32 v34, s6, v34
	v_addc_co_u32_e64 v12, s[4:5], v29, v12, s[4:5]
	v_ashrrev_i32_e32 v40, 31, v37
	v_mul_lo_u32 v41, s7, v37
	global_load_dwordx2 v[37:38], v[11:12], off
	v_add3_u32 v32, v32, v34, v39
	v_lshlrev_b64 v[11:12], 3, v[31:32]
	v_mul_lo_u32 v15, s6, v40
	v_add_co_u32_e64 v11, s[4:5], v28, v11
	v_addc_co_u32_e64 v12, s[4:5], v29, v12, s[4:5]
	global_load_dwordx2 v[39:40], v[11:12], off
	v_add3_u32 v14, v14, v15, v41
	v_lshlrev_b64 v[11:12], 3, v[13:14]
	v_add_co_u32_e64 v11, s[4:5], v28, v11
	v_addc_co_u32_e64 v12, s[4:5], v29, v12, s[4:5]
	global_load_dwordx2 v[41:42], v[11:12], off
	ds_read_b128 v[11:14], v5
	ds_read2_b64 v[31:34], v5 offset0:3 offset1:4
	v_add_u32_e32 v5, 48, v5
	s_waitcnt vmcnt(3) lgkmcnt(1)
	v_fma_f64 v[9:10], v[11:12], v[35:36], v[9:10]
	s_waitcnt vmcnt(2)
	v_fma_f64 v[9:10], v[13:14], v[37:38], v[9:10]
	s_waitcnt vmcnt(1) lgkmcnt(0)
	v_fma_f64 v[9:10], v[31:32], v[39:40], v[9:10]
	s_waitcnt vmcnt(0)
	v_fma_f64 v[9:10], v[33:34], v[41:42], v[9:10]
	s_cbranch_scc1 .LBB33_16
	s_branch .LBB33_11
.LBB33_17:                              ;   in Loop: Header=BB33_9 Depth=1
	s_or_b64 exec, exec, s[20:21]
.LBB33_18:                              ;   in Loop: Header=BB33_9 Depth=1
	s_or_b64 exec, exec, s[18:19]
	v_cmp_gt_i32_e32 vcc, s22, v7
	s_and_saveexec_b64 s[4:5], vcc
	s_cbranch_execz .LBB33_8
; %bb.19:                               ;   in Loop: Header=BB33_9 Depth=1
	s_and_saveexec_b64 s[18:19], s[0:1]
	s_xor_b64 s[18:19], exec, s[18:19]
	s_cbranch_execz .LBB33_24
; %bb.20:                               ;   in Loop: Header=BB33_9 Depth=1
	s_mov_b64 s[20:21], -1
	s_and_b64 vcc, exec, s[8:9]
	s_cbranch_vccz .LBB33_22
; %bb.21:                               ;   in Loop: Header=BB33_9 Depth=1
	v_lshlrev_b64 v[11:12], 3, v[7:8]
	v_mul_f64 v[28:29], v[1:2], v[9:10]
	v_add_co_u32_e32 v11, vcc, v23, v11
	v_addc_co_u32_e32 v12, vcc, v24, v12, vcc
	global_load_dwordx2 v[13:14], v[11:12], off
	s_mov_b64 s[20:21], 0
	s_waitcnt vmcnt(0)
	v_fma_f64 v[13:14], v[3:4], v[13:14], v[28:29]
	global_store_dwordx2 v[11:12], v[13:14], off
.LBB33_22:                              ;   in Loop: Header=BB33_9 Depth=1
	s_andn2_b64 vcc, exec, s[20:21]
	s_cbranch_vccnz .LBB33_24
; %bb.23:                               ;   in Loop: Header=BB33_9 Depth=1
	v_mul_lo_u32 v5, s27, v7
	v_mul_lo_u32 v11, s26, v8
	v_mad_u64_u32 v[7:8], s[20:21], s26, v7, 0
	v_mul_f64 v[9:10], v[1:2], v[9:10]
	v_add3_u32 v8, v8, v11, v5
	v_lshlrev_b64 v[7:8], 3, v[7:8]
	v_add_co_u32_e32 v7, vcc, v21, v7
	v_addc_co_u32_e32 v8, vcc, v22, v8, vcc
	global_load_dwordx2 v[11:12], v[7:8], off
	s_waitcnt vmcnt(0)
	v_fma_f64 v[9:10], v[3:4], v[11:12], v[9:10]
	global_store_dwordx2 v[7:8], v[9:10], off
                                        ; implicit-def: $vgpr9_vgpr10
                                        ; implicit-def: $vgpr7
.LBB33_24:                              ;   in Loop: Header=BB33_9 Depth=1
	s_andn2_saveexec_b64 s[18:19], s[18:19]
	s_cbranch_execz .LBB33_8
; %bb.25:                               ;   in Loop: Header=BB33_9 Depth=1
	v_mul_f64 v[9:10], v[1:2], v[9:10]
	s_mov_b64 s[18:19], -1
	s_and_b64 vcc, exec, s[8:9]
	s_cbranch_vccz .LBB33_27
; %bb.26:                               ;   in Loop: Header=BB33_9 Depth=1
	v_lshlrev_b64 v[11:12], 3, v[7:8]
	s_mov_b64 s[18:19], 0
	v_add_co_u32_e32 v11, vcc, v23, v11
	v_addc_co_u32_e32 v12, vcc, v24, v12, vcc
	global_store_dwordx2 v[11:12], v[9:10], off
.LBB33_27:                              ;   in Loop: Header=BB33_9 Depth=1
	s_andn2_b64 vcc, exec, s[18:19]
	s_cbranch_vccnz .LBB33_8
; %bb.28:                               ;   in Loop: Header=BB33_9 Depth=1
	v_mul_lo_u32 v5, s27, v7
	v_mul_lo_u32 v11, s26, v8
	v_mad_u64_u32 v[7:8], s[18:19], s26, v7, 0
	v_add3_u32 v8, v8, v11, v5
	v_lshlrev_b64 v[7:8], 3, v[7:8]
	v_add_co_u32_e32 v7, vcc, v21, v7
	v_addc_co_u32_e32 v8, vcc, v22, v8, vcc
	global_store_dwordx2 v[7:8], v[9:10], off
	s_branch .LBB33_8
.LBB33_29:
	s_endpgm
	.section	.rodata,"a",@progbits
	.p2align	6, 0x0
	.amdhsa_kernel _ZN9rocsparseL29bsrmmnt_small_blockdim_kernelILj64ELj8ELj2EiiddddEEv20rocsparse_direction_T3_S2_llNS_24const_host_device_scalarIT7_EEPKT2_PKS2_PKT4_PKT5_llS5_PT6_ll16rocsparse_order_21rocsparse_index_base_b
		.amdhsa_group_segment_fixed_size 1792
		.amdhsa_private_segment_fixed_size 0
		.amdhsa_kernarg_size 392
		.amdhsa_user_sgpr_count 6
		.amdhsa_user_sgpr_private_segment_buffer 1
		.amdhsa_user_sgpr_dispatch_ptr 0
		.amdhsa_user_sgpr_queue_ptr 0
		.amdhsa_user_sgpr_kernarg_segment_ptr 1
		.amdhsa_user_sgpr_dispatch_id 0
		.amdhsa_user_sgpr_flat_scratch_init 0
		.amdhsa_user_sgpr_private_segment_size 0
		.amdhsa_uses_dynamic_stack 0
		.amdhsa_system_sgpr_private_segment_wavefront_offset 0
		.amdhsa_system_sgpr_workgroup_id_x 1
		.amdhsa_system_sgpr_workgroup_id_y 0
		.amdhsa_system_sgpr_workgroup_id_z 0
		.amdhsa_system_sgpr_workgroup_info 0
		.amdhsa_system_vgpr_workitem_id 0
		.amdhsa_next_free_vgpr 43
		.amdhsa_next_free_sgpr 61
		.amdhsa_reserve_vcc 1
		.amdhsa_reserve_flat_scratch 0
		.amdhsa_float_round_mode_32 0
		.amdhsa_float_round_mode_16_64 0
		.amdhsa_float_denorm_mode_32 3
		.amdhsa_float_denorm_mode_16_64 3
		.amdhsa_dx10_clamp 1
		.amdhsa_ieee_mode 1
		.amdhsa_fp16_overflow 0
		.amdhsa_exception_fp_ieee_invalid_op 0
		.amdhsa_exception_fp_denorm_src 0
		.amdhsa_exception_fp_ieee_div_zero 0
		.amdhsa_exception_fp_ieee_overflow 0
		.amdhsa_exception_fp_ieee_underflow 0
		.amdhsa_exception_fp_ieee_inexact 0
		.amdhsa_exception_int_div_zero 0
	.end_amdhsa_kernel
	.section	.text._ZN9rocsparseL29bsrmmnt_small_blockdim_kernelILj64ELj8ELj2EiiddddEEv20rocsparse_direction_T3_S2_llNS_24const_host_device_scalarIT7_EEPKT2_PKS2_PKT4_PKT5_llS5_PT6_ll16rocsparse_order_21rocsparse_index_base_b,"axG",@progbits,_ZN9rocsparseL29bsrmmnt_small_blockdim_kernelILj64ELj8ELj2EiiddddEEv20rocsparse_direction_T3_S2_llNS_24const_host_device_scalarIT7_EEPKT2_PKS2_PKT4_PKT5_llS5_PT6_ll16rocsparse_order_21rocsparse_index_base_b,comdat
.Lfunc_end33:
	.size	_ZN9rocsparseL29bsrmmnt_small_blockdim_kernelILj64ELj8ELj2EiiddddEEv20rocsparse_direction_T3_S2_llNS_24const_host_device_scalarIT7_EEPKT2_PKS2_PKT4_PKT5_llS5_PT6_ll16rocsparse_order_21rocsparse_index_base_b, .Lfunc_end33-_ZN9rocsparseL29bsrmmnt_small_blockdim_kernelILj64ELj8ELj2EiiddddEEv20rocsparse_direction_T3_S2_llNS_24const_host_device_scalarIT7_EEPKT2_PKS2_PKT4_PKT5_llS5_PT6_ll16rocsparse_order_21rocsparse_index_base_b
                                        ; -- End function
	.set _ZN9rocsparseL29bsrmmnt_small_blockdim_kernelILj64ELj8ELj2EiiddddEEv20rocsparse_direction_T3_S2_llNS_24const_host_device_scalarIT7_EEPKT2_PKS2_PKT4_PKT5_llS5_PT6_ll16rocsparse_order_21rocsparse_index_base_b.num_vgpr, 43
	.set _ZN9rocsparseL29bsrmmnt_small_blockdim_kernelILj64ELj8ELj2EiiddddEEv20rocsparse_direction_T3_S2_llNS_24const_host_device_scalarIT7_EEPKT2_PKS2_PKT4_PKT5_llS5_PT6_ll16rocsparse_order_21rocsparse_index_base_b.num_agpr, 0
	.set _ZN9rocsparseL29bsrmmnt_small_blockdim_kernelILj64ELj8ELj2EiiddddEEv20rocsparse_direction_T3_S2_llNS_24const_host_device_scalarIT7_EEPKT2_PKS2_PKT4_PKT5_llS5_PT6_ll16rocsparse_order_21rocsparse_index_base_b.numbered_sgpr, 28
	.set _ZN9rocsparseL29bsrmmnt_small_blockdim_kernelILj64ELj8ELj2EiiddddEEv20rocsparse_direction_T3_S2_llNS_24const_host_device_scalarIT7_EEPKT2_PKS2_PKT4_PKT5_llS5_PT6_ll16rocsparse_order_21rocsparse_index_base_b.num_named_barrier, 0
	.set _ZN9rocsparseL29bsrmmnt_small_blockdim_kernelILj64ELj8ELj2EiiddddEEv20rocsparse_direction_T3_S2_llNS_24const_host_device_scalarIT7_EEPKT2_PKS2_PKT4_PKT5_llS5_PT6_ll16rocsparse_order_21rocsparse_index_base_b.private_seg_size, 0
	.set _ZN9rocsparseL29bsrmmnt_small_blockdim_kernelILj64ELj8ELj2EiiddddEEv20rocsparse_direction_T3_S2_llNS_24const_host_device_scalarIT7_EEPKT2_PKS2_PKT4_PKT5_llS5_PT6_ll16rocsparse_order_21rocsparse_index_base_b.uses_vcc, 1
	.set _ZN9rocsparseL29bsrmmnt_small_blockdim_kernelILj64ELj8ELj2EiiddddEEv20rocsparse_direction_T3_S2_llNS_24const_host_device_scalarIT7_EEPKT2_PKS2_PKT4_PKT5_llS5_PT6_ll16rocsparse_order_21rocsparse_index_base_b.uses_flat_scratch, 0
	.set _ZN9rocsparseL29bsrmmnt_small_blockdim_kernelILj64ELj8ELj2EiiddddEEv20rocsparse_direction_T3_S2_llNS_24const_host_device_scalarIT7_EEPKT2_PKS2_PKT4_PKT5_llS5_PT6_ll16rocsparse_order_21rocsparse_index_base_b.has_dyn_sized_stack, 0
	.set _ZN9rocsparseL29bsrmmnt_small_blockdim_kernelILj64ELj8ELj2EiiddddEEv20rocsparse_direction_T3_S2_llNS_24const_host_device_scalarIT7_EEPKT2_PKS2_PKT4_PKT5_llS5_PT6_ll16rocsparse_order_21rocsparse_index_base_b.has_recursion, 0
	.set _ZN9rocsparseL29bsrmmnt_small_blockdim_kernelILj64ELj8ELj2EiiddddEEv20rocsparse_direction_T3_S2_llNS_24const_host_device_scalarIT7_EEPKT2_PKS2_PKT4_PKT5_llS5_PT6_ll16rocsparse_order_21rocsparse_index_base_b.has_indirect_call, 0
	.section	.AMDGPU.csdata,"",@progbits
; Kernel info:
; codeLenInByte = 1468
; TotalNumSgprs: 32
; NumVgprs: 43
; ScratchSize: 0
; MemoryBound: 0
; FloatMode: 240
; IeeeMode: 1
; LDSByteSize: 1792 bytes/workgroup (compile time only)
; SGPRBlocks: 8
; VGPRBlocks: 10
; NumSGPRsForWavesPerEU: 65
; NumVGPRsForWavesPerEU: 43
; Occupancy: 5
; WaveLimiterHint : 1
; COMPUTE_PGM_RSRC2:SCRATCH_EN: 0
; COMPUTE_PGM_RSRC2:USER_SGPR: 6
; COMPUTE_PGM_RSRC2:TRAP_HANDLER: 0
; COMPUTE_PGM_RSRC2:TGID_X_EN: 1
; COMPUTE_PGM_RSRC2:TGID_Y_EN: 0
; COMPUTE_PGM_RSRC2:TGID_Z_EN: 0
; COMPUTE_PGM_RSRC2:TIDIG_COMP_CNT: 0
	.section	.text._ZN9rocsparseL29bsrmmnt_small_blockdim_kernelILj64ELj16ELj2EiiddddEEv20rocsparse_direction_T3_S2_llNS_24const_host_device_scalarIT7_EEPKT2_PKS2_PKT4_PKT5_llS5_PT6_ll16rocsparse_order_21rocsparse_index_base_b,"axG",@progbits,_ZN9rocsparseL29bsrmmnt_small_blockdim_kernelILj64ELj16ELj2EiiddddEEv20rocsparse_direction_T3_S2_llNS_24const_host_device_scalarIT7_EEPKT2_PKS2_PKT4_PKT5_llS5_PT6_ll16rocsparse_order_21rocsparse_index_base_b,comdat
	.globl	_ZN9rocsparseL29bsrmmnt_small_blockdim_kernelILj64ELj16ELj2EiiddddEEv20rocsparse_direction_T3_S2_llNS_24const_host_device_scalarIT7_EEPKT2_PKS2_PKT4_PKT5_llS5_PT6_ll16rocsparse_order_21rocsparse_index_base_b ; -- Begin function _ZN9rocsparseL29bsrmmnt_small_blockdim_kernelILj64ELj16ELj2EiiddddEEv20rocsparse_direction_T3_S2_llNS_24const_host_device_scalarIT7_EEPKT2_PKS2_PKT4_PKT5_llS5_PT6_ll16rocsparse_order_21rocsparse_index_base_b
	.p2align	8
	.type	_ZN9rocsparseL29bsrmmnt_small_blockdim_kernelILj64ELj16ELj2EiiddddEEv20rocsparse_direction_T3_S2_llNS_24const_host_device_scalarIT7_EEPKT2_PKS2_PKT4_PKT5_llS5_PT6_ll16rocsparse_order_21rocsparse_index_base_b,@function
_ZN9rocsparseL29bsrmmnt_small_blockdim_kernelILj64ELj16ELj2EiiddddEEv20rocsparse_direction_T3_S2_llNS_24const_host_device_scalarIT7_EEPKT2_PKS2_PKT4_PKT5_llS5_PT6_ll16rocsparse_order_21rocsparse_index_base_b: ; @_ZN9rocsparseL29bsrmmnt_small_blockdim_kernelILj64ELj16ELj2EiiddddEEv20rocsparse_direction_T3_S2_llNS_24const_host_device_scalarIT7_EEPKT2_PKS2_PKT4_PKT5_llS5_PT6_ll16rocsparse_order_21rocsparse_index_base_b
; %bb.0:
	s_load_dwordx4 s[16:19], s[4:5], 0x78
	s_load_dwordx2 s[8:9], s[4:5], 0x20
	s_load_dwordx2 s[0:1], s[4:5], 0x58
	s_waitcnt lgkmcnt(0)
	s_bitcmp1_b32 s18, 0
	s_cselect_b64 s[10:11], -1, 0
	v_mov_b32_e32 v1, s8
	s_xor_b64 s[2:3], s[10:11], -1
	s_and_b64 vcc, exec, s[10:11]
	v_mov_b32_e32 v2, s9
	s_cbranch_vccnz .LBB34_2
; %bb.1:
	v_mov_b32_e32 v1, s8
	v_mov_b32_e32 v2, s9
	flat_load_dwordx2 v[1:2], v[1:2]
.LBB34_2:
	v_mov_b32_e32 v4, s1
	s_andn2_b64 vcc, exec, s[2:3]
	v_mov_b32_e32 v3, s0
	s_cbranch_vccnz .LBB34_4
; %bb.3:
	v_mov_b32_e32 v4, s1
	v_mov_b32_e32 v3, s0
	flat_load_dwordx2 v[3:4], v[3:4]
.LBB34_4:
	s_waitcnt vmcnt(0) lgkmcnt(0)
	v_cmp_neq_f64_e32 vcc, 0, v[1:2]
	v_cmp_neq_f64_e64 s[0:1], 1.0, v[3:4]
	s_or_b64 s[0:1], vcc, s[0:1]
	s_and_saveexec_b64 s[2:3], s[0:1]
	s_cbranch_execz .LBB34_29
; %bb.5:
	s_load_dword s0, s[4:5], 0x94
	s_load_dwordx4 s[20:23], s[4:5], 0x0
	s_waitcnt lgkmcnt(0)
	s_and_b32 s0, s0, 0xffff
	s_mul_i32 s6, s6, s0
	v_add_u32_e32 v5, s6, v0
	v_lshrrev_b32_e32 v6, 5, v5
	v_cmp_gt_i32_e32 vcc, s21, v6
	s_and_b64 exec, exec, vcc
	s_cbranch_execz .LBB34_29
; %bb.6:
	s_cmp_lt_i32 s22, 1
	s_cbranch_scc1 .LBB34_29
; %bb.7:
	s_load_dwordx8 s[8:15], s[4:5], 0x28
	v_lshlrev_b32_e32 v6, 2, v6
	v_lshrrev_b32_e32 v11, 4, v5
	v_bfe_u32 v5, v5, 4, 1
	s_cmp_eq_u32 s20, 0
	s_waitcnt lgkmcnt(0)
	global_load_dwordx2 v[7:8], v6, s[8:9]
	s_load_dwordx4 s[24:27], s[4:5], 0x60
	s_load_dwordx2 s[6:7], s[4:5], 0x48
	v_and_b32_e32 v16, 15, v0
	v_lshrrev_b32_e32 v9, 4, v0
	v_mov_b32_e32 v0, 0x600
	v_lshlrev_b32_e32 v10, 1, v5
	s_cselect_b64 vcc, -1, 0
	v_lshl_or_b32 v0, v9, 6, v0
	v_mul_u32_u24_e32 v17, 0x180, v9
	v_or_b32_e32 v15, 1, v10
	v_cndmask_b32_e32 v19, v5, v10, vcc
	s_waitcnt lgkmcnt(0)
	v_mad_u64_u32 v[9:10], s[2:3], s26, v11, 0
	v_mov_b32_e32 v6, 0
	v_or_b32_e32 v12, 2, v5
	v_mov_b32_e32 v5, v10
	v_cmp_neq_f64_e64 s[0:1], 0, v[3:4]
	v_lshlrev_b32_e32 v14, 3, v11
	v_mad_u64_u32 v[10:11], s[2:3], s27, v11, v[5:6]
	v_cndmask_b32_e32 v20, v12, v15, vcc
	v_mov_b32_e32 v15, s25
	v_add_co_u32_e32 v21, vcc, s24, v14
	v_lshlrev_b64 v[9:10], 3, v[9:10]
	v_addc_co_u32_e32 v22, vcc, 0, v15, vcc
	v_mul_u32_u24_e32 v13, 24, v16
	s_cmp_lg_u32 s16, 1
	v_mov_b32_e32 v12, s25
	v_add_co_u32_e32 v23, vcc, s24, v9
	s_mov_b32 s23, 0
	v_lshl_or_b32 v18, v16, 2, v0
	s_cselect_b64 s[8:9], -1, 0
	v_addc_co_u32_e32 v24, vcc, v12, v10, vcc
	v_add_u32_e32 v27, v17, v13
	s_waitcnt vmcnt(0)
	v_subrev_u32_e32 v25, s17, v7
	v_subrev_u32_e32 v26, s17, v8
	v_cmp_lt_i32_e64 s[2:3], v7, v8
	s_branch .LBB34_9
.LBB34_8:                               ;   in Loop: Header=BB34_9 Depth=1
	s_or_b64 exec, exec, s[4:5]
	s_add_i32 s23, s23, 16
	s_cmp_lt_i32 s23, s22
	s_cbranch_scc0 .LBB34_29
.LBB34_9:                               ; =>This Loop Header: Depth=1
                                        ;     Child Loop BB34_12 Depth 2
                                        ;       Child Loop BB34_16 Depth 3
	v_or_b32_e32 v7, s23, v16
	v_mov_b32_e32 v9, 0
	v_mov_b32_e32 v10, 0
	v_ashrrev_i32_e32 v8, 31, v7
	s_and_saveexec_b64 s[18:19], s[2:3]
	s_cbranch_execz .LBB34_18
; %bb.10:                               ;   in Loop: Header=BB34_9 Depth=1
	v_lshlrev_b64 v[9:10], 3, v[7:8]
	v_mov_b32_e32 v5, s15
	v_add_co_u32_e64 v28, s[4:5], s14, v9
	v_addc_co_u32_e64 v29, s[4:5], v5, v10, s[4:5]
	v_mov_b32_e32 v9, 0
	v_cmp_gt_i32_e32 vcc, s22, v7
	v_mov_b32_e32 v10, 0
	s_mov_b64 s[20:21], 0
	v_mov_b32_e32 v30, v25
	s_branch .LBB34_12
.LBB34_11:                              ;   in Loop: Header=BB34_12 Depth=2
	s_or_b64 exec, exec, s[24:25]
	v_add_u32_e32 v30, 16, v30
	v_cmp_ge_i32_e64 s[4:5], v30, v26
	s_or_b64 s[20:21], s[4:5], s[20:21]
	s_andn2_b64 exec, exec, s[20:21]
	s_cbranch_execz .LBB34_17
.LBB34_12:                              ;   Parent Loop BB34_9 Depth=1
                                        ; =>  This Loop Header: Depth=2
                                        ;       Child Loop BB34_16 Depth 3
	v_add_u32_e32 v13, v30, v16
	v_mov_b32_e32 v11, 0
	v_mov_b32_e32 v14, 0
	v_cmp_lt_i32_e64 s[4:5], v13, v26
	v_mov_b32_e32 v12, 0
	v_mov_b32_e32 v15, 0
	;; [unrolled: 1-line block ×3, first 2 shown]
	s_and_saveexec_b64 s[24:25], s[4:5]
	s_cbranch_execz .LBB34_14
; %bb.13:                               ;   in Loop: Header=BB34_12 Depth=2
	v_ashrrev_i32_e32 v14, 31, v13
	v_lshlrev_b64 v[11:12], 2, v[13:14]
	v_mov_b32_e32 v5, s11
	v_add_co_u32_e64 v11, s[4:5], s10, v11
	v_lshlrev_b32_e32 v13, 2, v13
	v_addc_co_u32_e64 v12, s[4:5], v5, v12, s[4:5]
	v_or_b32_e32 v5, v13, v19
	global_load_dword v35, v[11:12], off
	v_lshlrev_b64 v[11:12], 3, v[5:6]
	v_mov_b32_e32 v5, s13
	v_add_co_u32_e64 v31, s[4:5], s12, v11
	v_addc_co_u32_e64 v32, s[4:5], v5, v12, s[4:5]
	v_or_b32_e32 v5, v13, v20
	v_lshlrev_b64 v[11:12], 3, v[5:6]
	v_mov_b32_e32 v5, s13
	v_add_co_u32_e64 v33, s[4:5], s12, v11
	v_addc_co_u32_e64 v34, s[4:5], v5, v12, s[4:5]
	global_load_dwordx2 v[11:12], v[31:32], off
	global_load_dwordx2 v[14:15], v[33:34], off
	s_waitcnt vmcnt(2)
	v_subrev_u32_e32 v5, s17, v35
	v_lshlrev_b32_e32 v5, 1, v5
.LBB34_14:                              ;   in Loop: Header=BB34_12 Depth=2
	s_or_b64 exec, exec, s[24:25]
	ds_write_b32 v18, v5
	s_waitcnt vmcnt(0)
	ds_write2_b64 v27, v[11:12], v[14:15] offset1:1
	s_waitcnt lgkmcnt(0)
	; wave barrier
	s_and_saveexec_b64 s[24:25], vcc
	s_cbranch_execz .LBB34_11
; %bb.15:                               ;   in Loop: Header=BB34_12 Depth=2
	s_mov_b32 s16, 0
	v_mov_b32_e32 v5, v17
.LBB34_16:                              ;   Parent Loop BB34_9 Depth=1
                                        ;     Parent Loop BB34_12 Depth=2
                                        ; =>    This Inner Loop Header: Depth=3
	v_add_u32_e32 v11, s16, v0
	ds_read_b64 v[11:12], v11
	s_add_i32 s16, s16, 8
	s_cmp_lg_u32 s16, 64
	s_waitcnt lgkmcnt(0)
	v_ashrrev_i32_e32 v15, 31, v11
	v_mul_lo_u32 v33, s7, v11
	v_mad_u64_u32 v[13:14], s[4:5], s6, v11, 0
	v_mul_lo_u32 v15, s6, v15
	v_add_u32_e32 v11, 1, v11
	v_ashrrev_i32_e32 v34, 31, v12
	v_mul_lo_u32 v39, s7, v12
	v_add3_u32 v14, v14, v15, v33
	v_lshlrev_b64 v[13:14], 3, v[13:14]
	v_mad_u64_u32 v[31:32], s[4:5], s6, v12, 0
	v_add_u32_e32 v37, 1, v12
	v_ashrrev_i32_e32 v35, 31, v11
	v_mul_lo_u32 v38, s7, v11
	v_mad_u64_u32 v[11:12], s[4:5], s6, v11, 0
	v_add_co_u32_e64 v13, s[4:5], v28, v13
	v_mul_lo_u32 v42, s6, v35
	v_addc_co_u32_e64 v14, s[4:5], v29, v14, s[4:5]
	global_load_dwordx2 v[35:36], v[13:14], off
	v_add3_u32 v12, v12, v42, v38
	v_lshlrev_b64 v[11:12], 3, v[11:12]
	v_mad_u64_u32 v[13:14], s[4:5], s6, v37, 0
	v_add_co_u32_e64 v11, s[4:5], v28, v11
	v_mul_lo_u32 v34, s6, v34
	v_addc_co_u32_e64 v12, s[4:5], v29, v12, s[4:5]
	v_ashrrev_i32_e32 v40, 31, v37
	v_mul_lo_u32 v41, s7, v37
	global_load_dwordx2 v[37:38], v[11:12], off
	v_add3_u32 v32, v32, v34, v39
	v_lshlrev_b64 v[11:12], 3, v[31:32]
	v_mul_lo_u32 v15, s6, v40
	v_add_co_u32_e64 v11, s[4:5], v28, v11
	v_addc_co_u32_e64 v12, s[4:5], v29, v12, s[4:5]
	global_load_dwordx2 v[39:40], v[11:12], off
	v_add3_u32 v14, v14, v15, v41
	v_lshlrev_b64 v[11:12], 3, v[13:14]
	v_add_co_u32_e64 v11, s[4:5], v28, v11
	v_addc_co_u32_e64 v12, s[4:5], v29, v12, s[4:5]
	global_load_dwordx2 v[41:42], v[11:12], off
	ds_read_b128 v[11:14], v5
	ds_read2_b64 v[31:34], v5 offset0:3 offset1:4
	v_add_u32_e32 v5, 48, v5
	s_waitcnt vmcnt(3) lgkmcnt(1)
	v_fma_f64 v[9:10], v[11:12], v[35:36], v[9:10]
	s_waitcnt vmcnt(2)
	v_fma_f64 v[9:10], v[13:14], v[37:38], v[9:10]
	s_waitcnt vmcnt(1) lgkmcnt(0)
	v_fma_f64 v[9:10], v[31:32], v[39:40], v[9:10]
	s_waitcnt vmcnt(0)
	v_fma_f64 v[9:10], v[33:34], v[41:42], v[9:10]
	s_cbranch_scc1 .LBB34_16
	s_branch .LBB34_11
.LBB34_17:                              ;   in Loop: Header=BB34_9 Depth=1
	s_or_b64 exec, exec, s[20:21]
.LBB34_18:                              ;   in Loop: Header=BB34_9 Depth=1
	s_or_b64 exec, exec, s[18:19]
	v_cmp_gt_i32_e32 vcc, s22, v7
	s_and_saveexec_b64 s[4:5], vcc
	s_cbranch_execz .LBB34_8
; %bb.19:                               ;   in Loop: Header=BB34_9 Depth=1
	s_and_saveexec_b64 s[18:19], s[0:1]
	s_xor_b64 s[18:19], exec, s[18:19]
	s_cbranch_execz .LBB34_24
; %bb.20:                               ;   in Loop: Header=BB34_9 Depth=1
	s_mov_b64 s[20:21], -1
	s_and_b64 vcc, exec, s[8:9]
	s_cbranch_vccz .LBB34_22
; %bb.21:                               ;   in Loop: Header=BB34_9 Depth=1
	v_lshlrev_b64 v[11:12], 3, v[7:8]
	v_mul_f64 v[28:29], v[1:2], v[9:10]
	v_add_co_u32_e32 v11, vcc, v23, v11
	v_addc_co_u32_e32 v12, vcc, v24, v12, vcc
	global_load_dwordx2 v[13:14], v[11:12], off
	s_mov_b64 s[20:21], 0
	s_waitcnt vmcnt(0)
	v_fma_f64 v[13:14], v[3:4], v[13:14], v[28:29]
	global_store_dwordx2 v[11:12], v[13:14], off
.LBB34_22:                              ;   in Loop: Header=BB34_9 Depth=1
	s_andn2_b64 vcc, exec, s[20:21]
	s_cbranch_vccnz .LBB34_24
; %bb.23:                               ;   in Loop: Header=BB34_9 Depth=1
	v_mul_lo_u32 v5, s27, v7
	v_mul_lo_u32 v11, s26, v8
	v_mad_u64_u32 v[7:8], s[20:21], s26, v7, 0
	v_mul_f64 v[9:10], v[1:2], v[9:10]
	v_add3_u32 v8, v8, v11, v5
	v_lshlrev_b64 v[7:8], 3, v[7:8]
	v_add_co_u32_e32 v7, vcc, v21, v7
	v_addc_co_u32_e32 v8, vcc, v22, v8, vcc
	global_load_dwordx2 v[11:12], v[7:8], off
	s_waitcnt vmcnt(0)
	v_fma_f64 v[9:10], v[3:4], v[11:12], v[9:10]
	global_store_dwordx2 v[7:8], v[9:10], off
                                        ; implicit-def: $vgpr9_vgpr10
                                        ; implicit-def: $vgpr7
.LBB34_24:                              ;   in Loop: Header=BB34_9 Depth=1
	s_andn2_saveexec_b64 s[18:19], s[18:19]
	s_cbranch_execz .LBB34_8
; %bb.25:                               ;   in Loop: Header=BB34_9 Depth=1
	v_mul_f64 v[9:10], v[1:2], v[9:10]
	s_mov_b64 s[18:19], -1
	s_and_b64 vcc, exec, s[8:9]
	s_cbranch_vccz .LBB34_27
; %bb.26:                               ;   in Loop: Header=BB34_9 Depth=1
	v_lshlrev_b64 v[11:12], 3, v[7:8]
	s_mov_b64 s[18:19], 0
	v_add_co_u32_e32 v11, vcc, v23, v11
	v_addc_co_u32_e32 v12, vcc, v24, v12, vcc
	global_store_dwordx2 v[11:12], v[9:10], off
.LBB34_27:                              ;   in Loop: Header=BB34_9 Depth=1
	s_andn2_b64 vcc, exec, s[18:19]
	s_cbranch_vccnz .LBB34_8
; %bb.28:                               ;   in Loop: Header=BB34_9 Depth=1
	v_mul_lo_u32 v5, s27, v7
	v_mul_lo_u32 v11, s26, v8
	v_mad_u64_u32 v[7:8], s[18:19], s26, v7, 0
	v_add3_u32 v8, v8, v11, v5
	v_lshlrev_b64 v[7:8], 3, v[7:8]
	v_add_co_u32_e32 v7, vcc, v21, v7
	v_addc_co_u32_e32 v8, vcc, v22, v8, vcc
	global_store_dwordx2 v[7:8], v[9:10], off
	s_branch .LBB34_8
.LBB34_29:
	s_endpgm
	.section	.rodata,"a",@progbits
	.p2align	6, 0x0
	.amdhsa_kernel _ZN9rocsparseL29bsrmmnt_small_blockdim_kernelILj64ELj16ELj2EiiddddEEv20rocsparse_direction_T3_S2_llNS_24const_host_device_scalarIT7_EEPKT2_PKS2_PKT4_PKT5_llS5_PT6_ll16rocsparse_order_21rocsparse_index_base_b
		.amdhsa_group_segment_fixed_size 1792
		.amdhsa_private_segment_fixed_size 0
		.amdhsa_kernarg_size 392
		.amdhsa_user_sgpr_count 6
		.amdhsa_user_sgpr_private_segment_buffer 1
		.amdhsa_user_sgpr_dispatch_ptr 0
		.amdhsa_user_sgpr_queue_ptr 0
		.amdhsa_user_sgpr_kernarg_segment_ptr 1
		.amdhsa_user_sgpr_dispatch_id 0
		.amdhsa_user_sgpr_flat_scratch_init 0
		.amdhsa_user_sgpr_private_segment_size 0
		.amdhsa_uses_dynamic_stack 0
		.amdhsa_system_sgpr_private_segment_wavefront_offset 0
		.amdhsa_system_sgpr_workgroup_id_x 1
		.amdhsa_system_sgpr_workgroup_id_y 0
		.amdhsa_system_sgpr_workgroup_id_z 0
		.amdhsa_system_sgpr_workgroup_info 0
		.amdhsa_system_vgpr_workitem_id 0
		.amdhsa_next_free_vgpr 43
		.amdhsa_next_free_sgpr 61
		.amdhsa_reserve_vcc 1
		.amdhsa_reserve_flat_scratch 0
		.amdhsa_float_round_mode_32 0
		.amdhsa_float_round_mode_16_64 0
		.amdhsa_float_denorm_mode_32 3
		.amdhsa_float_denorm_mode_16_64 3
		.amdhsa_dx10_clamp 1
		.amdhsa_ieee_mode 1
		.amdhsa_fp16_overflow 0
		.amdhsa_exception_fp_ieee_invalid_op 0
		.amdhsa_exception_fp_denorm_src 0
		.amdhsa_exception_fp_ieee_div_zero 0
		.amdhsa_exception_fp_ieee_overflow 0
		.amdhsa_exception_fp_ieee_underflow 0
		.amdhsa_exception_fp_ieee_inexact 0
		.amdhsa_exception_int_div_zero 0
	.end_amdhsa_kernel
	.section	.text._ZN9rocsparseL29bsrmmnt_small_blockdim_kernelILj64ELj16ELj2EiiddddEEv20rocsparse_direction_T3_S2_llNS_24const_host_device_scalarIT7_EEPKT2_PKS2_PKT4_PKT5_llS5_PT6_ll16rocsparse_order_21rocsparse_index_base_b,"axG",@progbits,_ZN9rocsparseL29bsrmmnt_small_blockdim_kernelILj64ELj16ELj2EiiddddEEv20rocsparse_direction_T3_S2_llNS_24const_host_device_scalarIT7_EEPKT2_PKS2_PKT4_PKT5_llS5_PT6_ll16rocsparse_order_21rocsparse_index_base_b,comdat
.Lfunc_end34:
	.size	_ZN9rocsparseL29bsrmmnt_small_blockdim_kernelILj64ELj16ELj2EiiddddEEv20rocsparse_direction_T3_S2_llNS_24const_host_device_scalarIT7_EEPKT2_PKS2_PKT4_PKT5_llS5_PT6_ll16rocsparse_order_21rocsparse_index_base_b, .Lfunc_end34-_ZN9rocsparseL29bsrmmnt_small_blockdim_kernelILj64ELj16ELj2EiiddddEEv20rocsparse_direction_T3_S2_llNS_24const_host_device_scalarIT7_EEPKT2_PKS2_PKT4_PKT5_llS5_PT6_ll16rocsparse_order_21rocsparse_index_base_b
                                        ; -- End function
	.set _ZN9rocsparseL29bsrmmnt_small_blockdim_kernelILj64ELj16ELj2EiiddddEEv20rocsparse_direction_T3_S2_llNS_24const_host_device_scalarIT7_EEPKT2_PKS2_PKT4_PKT5_llS5_PT6_ll16rocsparse_order_21rocsparse_index_base_b.num_vgpr, 43
	.set _ZN9rocsparseL29bsrmmnt_small_blockdim_kernelILj64ELj16ELj2EiiddddEEv20rocsparse_direction_T3_S2_llNS_24const_host_device_scalarIT7_EEPKT2_PKS2_PKT4_PKT5_llS5_PT6_ll16rocsparse_order_21rocsparse_index_base_b.num_agpr, 0
	.set _ZN9rocsparseL29bsrmmnt_small_blockdim_kernelILj64ELj16ELj2EiiddddEEv20rocsparse_direction_T3_S2_llNS_24const_host_device_scalarIT7_EEPKT2_PKS2_PKT4_PKT5_llS5_PT6_ll16rocsparse_order_21rocsparse_index_base_b.numbered_sgpr, 28
	.set _ZN9rocsparseL29bsrmmnt_small_blockdim_kernelILj64ELj16ELj2EiiddddEEv20rocsparse_direction_T3_S2_llNS_24const_host_device_scalarIT7_EEPKT2_PKS2_PKT4_PKT5_llS5_PT6_ll16rocsparse_order_21rocsparse_index_base_b.num_named_barrier, 0
	.set _ZN9rocsparseL29bsrmmnt_small_blockdim_kernelILj64ELj16ELj2EiiddddEEv20rocsparse_direction_T3_S2_llNS_24const_host_device_scalarIT7_EEPKT2_PKS2_PKT4_PKT5_llS5_PT6_ll16rocsparse_order_21rocsparse_index_base_b.private_seg_size, 0
	.set _ZN9rocsparseL29bsrmmnt_small_blockdim_kernelILj64ELj16ELj2EiiddddEEv20rocsparse_direction_T3_S2_llNS_24const_host_device_scalarIT7_EEPKT2_PKS2_PKT4_PKT5_llS5_PT6_ll16rocsparse_order_21rocsparse_index_base_b.uses_vcc, 1
	.set _ZN9rocsparseL29bsrmmnt_small_blockdim_kernelILj64ELj16ELj2EiiddddEEv20rocsparse_direction_T3_S2_llNS_24const_host_device_scalarIT7_EEPKT2_PKS2_PKT4_PKT5_llS5_PT6_ll16rocsparse_order_21rocsparse_index_base_b.uses_flat_scratch, 0
	.set _ZN9rocsparseL29bsrmmnt_small_blockdim_kernelILj64ELj16ELj2EiiddddEEv20rocsparse_direction_T3_S2_llNS_24const_host_device_scalarIT7_EEPKT2_PKS2_PKT4_PKT5_llS5_PT6_ll16rocsparse_order_21rocsparse_index_base_b.has_dyn_sized_stack, 0
	.set _ZN9rocsparseL29bsrmmnt_small_blockdim_kernelILj64ELj16ELj2EiiddddEEv20rocsparse_direction_T3_S2_llNS_24const_host_device_scalarIT7_EEPKT2_PKS2_PKT4_PKT5_llS5_PT6_ll16rocsparse_order_21rocsparse_index_base_b.has_recursion, 0
	.set _ZN9rocsparseL29bsrmmnt_small_blockdim_kernelILj64ELj16ELj2EiiddddEEv20rocsparse_direction_T3_S2_llNS_24const_host_device_scalarIT7_EEPKT2_PKS2_PKT4_PKT5_llS5_PT6_ll16rocsparse_order_21rocsparse_index_base_b.has_indirect_call, 0
	.section	.AMDGPU.csdata,"",@progbits
; Kernel info:
; codeLenInByte = 1468
; TotalNumSgprs: 32
; NumVgprs: 43
; ScratchSize: 0
; MemoryBound: 0
; FloatMode: 240
; IeeeMode: 1
; LDSByteSize: 1792 bytes/workgroup (compile time only)
; SGPRBlocks: 8
; VGPRBlocks: 10
; NumSGPRsForWavesPerEU: 65
; NumVGPRsForWavesPerEU: 43
; Occupancy: 5
; WaveLimiterHint : 1
; COMPUTE_PGM_RSRC2:SCRATCH_EN: 0
; COMPUTE_PGM_RSRC2:USER_SGPR: 6
; COMPUTE_PGM_RSRC2:TRAP_HANDLER: 0
; COMPUTE_PGM_RSRC2:TGID_X_EN: 1
; COMPUTE_PGM_RSRC2:TGID_Y_EN: 0
; COMPUTE_PGM_RSRC2:TGID_Z_EN: 0
; COMPUTE_PGM_RSRC2:TIDIG_COMP_CNT: 0
	.section	.text._ZN9rocsparseL29bsrmmnt_small_blockdim_kernelILj64ELj32ELj2EiiddddEEv20rocsparse_direction_T3_S2_llNS_24const_host_device_scalarIT7_EEPKT2_PKS2_PKT4_PKT5_llS5_PT6_ll16rocsparse_order_21rocsparse_index_base_b,"axG",@progbits,_ZN9rocsparseL29bsrmmnt_small_blockdim_kernelILj64ELj32ELj2EiiddddEEv20rocsparse_direction_T3_S2_llNS_24const_host_device_scalarIT7_EEPKT2_PKS2_PKT4_PKT5_llS5_PT6_ll16rocsparse_order_21rocsparse_index_base_b,comdat
	.globl	_ZN9rocsparseL29bsrmmnt_small_blockdim_kernelILj64ELj32ELj2EiiddddEEv20rocsparse_direction_T3_S2_llNS_24const_host_device_scalarIT7_EEPKT2_PKS2_PKT4_PKT5_llS5_PT6_ll16rocsparse_order_21rocsparse_index_base_b ; -- Begin function _ZN9rocsparseL29bsrmmnt_small_blockdim_kernelILj64ELj32ELj2EiiddddEEv20rocsparse_direction_T3_S2_llNS_24const_host_device_scalarIT7_EEPKT2_PKS2_PKT4_PKT5_llS5_PT6_ll16rocsparse_order_21rocsparse_index_base_b
	.p2align	8
	.type	_ZN9rocsparseL29bsrmmnt_small_blockdim_kernelILj64ELj32ELj2EiiddddEEv20rocsparse_direction_T3_S2_llNS_24const_host_device_scalarIT7_EEPKT2_PKS2_PKT4_PKT5_llS5_PT6_ll16rocsparse_order_21rocsparse_index_base_b,@function
_ZN9rocsparseL29bsrmmnt_small_blockdim_kernelILj64ELj32ELj2EiiddddEEv20rocsparse_direction_T3_S2_llNS_24const_host_device_scalarIT7_EEPKT2_PKS2_PKT4_PKT5_llS5_PT6_ll16rocsparse_order_21rocsparse_index_base_b: ; @_ZN9rocsparseL29bsrmmnt_small_blockdim_kernelILj64ELj32ELj2EiiddddEEv20rocsparse_direction_T3_S2_llNS_24const_host_device_scalarIT7_EEPKT2_PKS2_PKT4_PKT5_llS5_PT6_ll16rocsparse_order_21rocsparse_index_base_b
; %bb.0:
	s_load_dwordx4 s[16:19], s[4:5], 0x78
	s_load_dwordx2 s[8:9], s[4:5], 0x20
	s_load_dwordx2 s[0:1], s[4:5], 0x58
	s_waitcnt lgkmcnt(0)
	s_bitcmp1_b32 s18, 0
	s_cselect_b64 s[10:11], -1, 0
	v_mov_b32_e32 v1, s8
	s_xor_b64 s[2:3], s[10:11], -1
	s_and_b64 vcc, exec, s[10:11]
	v_mov_b32_e32 v2, s9
	s_cbranch_vccnz .LBB35_2
; %bb.1:
	v_mov_b32_e32 v1, s8
	v_mov_b32_e32 v2, s9
	flat_load_dwordx2 v[1:2], v[1:2]
.LBB35_2:
	v_mov_b32_e32 v4, s1
	s_andn2_b64 vcc, exec, s[2:3]
	v_mov_b32_e32 v3, s0
	s_cbranch_vccnz .LBB35_4
; %bb.3:
	v_mov_b32_e32 v4, s1
	v_mov_b32_e32 v3, s0
	flat_load_dwordx2 v[3:4], v[3:4]
.LBB35_4:
	s_waitcnt vmcnt(0) lgkmcnt(0)
	v_cmp_neq_f64_e32 vcc, 0, v[1:2]
	v_cmp_neq_f64_e64 s[0:1], 1.0, v[3:4]
	s_or_b64 s[0:1], vcc, s[0:1]
	s_and_saveexec_b64 s[2:3], s[0:1]
	s_cbranch_execz .LBB35_29
; %bb.5:
	s_load_dword s0, s[4:5], 0x94
	s_load_dwordx4 s[20:23], s[4:5], 0x0
	s_waitcnt lgkmcnt(0)
	s_and_b32 s0, s0, 0xffff
	s_mul_i32 s6, s6, s0
	v_add_u32_e32 v5, s6, v0
	v_lshrrev_b32_e32 v6, 6, v5
	v_cmp_gt_i32_e32 vcc, s21, v6
	s_and_b64 exec, exec, vcc
	s_cbranch_execz .LBB35_29
; %bb.6:
	s_cmp_lt_i32 s22, 1
	s_cbranch_scc1 .LBB35_29
; %bb.7:
	s_load_dwordx8 s[8:15], s[4:5], 0x28
	v_lshlrev_b32_e32 v6, 2, v6
	v_lshrrev_b32_e32 v11, 5, v5
	v_bfe_u32 v5, v5, 5, 1
	s_cmp_eq_u32 s20, 0
	s_waitcnt lgkmcnt(0)
	global_load_dwordx2 v[7:8], v6, s[8:9]
	s_load_dwordx4 s[24:27], s[4:5], 0x60
	s_load_dwordx2 s[6:7], s[4:5], 0x48
	v_and_b32_e32 v16, 31, v0
	v_lshrrev_b32_e32 v9, 5, v0
	v_mov_b32_e32 v0, 0x600
	v_lshlrev_b32_e32 v10, 1, v5
	s_cselect_b64 vcc, -1, 0
	v_lshl_or_b32 v0, v9, 7, v0
	v_mul_u32_u24_e32 v17, 0x300, v9
	v_or_b32_e32 v15, 1, v10
	v_cndmask_b32_e32 v19, v5, v10, vcc
	s_waitcnt lgkmcnt(0)
	v_mad_u64_u32 v[9:10], s[2:3], s26, v11, 0
	v_mov_b32_e32 v6, 0
	v_or_b32_e32 v12, 2, v5
	v_mov_b32_e32 v5, v10
	v_cmp_neq_f64_e64 s[0:1], 0, v[3:4]
	v_lshlrev_b32_e32 v14, 3, v11
	v_mad_u64_u32 v[10:11], s[2:3], s27, v11, v[5:6]
	v_cndmask_b32_e32 v20, v12, v15, vcc
	v_mov_b32_e32 v15, s25
	v_add_co_u32_e32 v21, vcc, s24, v14
	v_lshlrev_b64 v[9:10], 3, v[9:10]
	v_addc_co_u32_e32 v22, vcc, 0, v15, vcc
	v_mul_u32_u24_e32 v13, 24, v16
	s_cmp_lg_u32 s16, 1
	v_mov_b32_e32 v12, s25
	v_add_co_u32_e32 v23, vcc, s24, v9
	s_mov_b32 s23, 0
	v_lshl_or_b32 v18, v16, 2, v0
	s_cselect_b64 s[8:9], -1, 0
	v_addc_co_u32_e32 v24, vcc, v12, v10, vcc
	v_add_u32_e32 v27, v17, v13
	s_waitcnt vmcnt(0)
	v_subrev_u32_e32 v25, s17, v7
	v_subrev_u32_e32 v26, s17, v8
	v_cmp_lt_i32_e64 s[2:3], v7, v8
	s_branch .LBB35_9
.LBB35_8:                               ;   in Loop: Header=BB35_9 Depth=1
	s_or_b64 exec, exec, s[4:5]
	s_add_i32 s23, s23, 32
	s_cmp_lt_i32 s23, s22
	s_cbranch_scc0 .LBB35_29
.LBB35_9:                               ; =>This Loop Header: Depth=1
                                        ;     Child Loop BB35_12 Depth 2
                                        ;       Child Loop BB35_16 Depth 3
	v_or_b32_e32 v7, s23, v16
	v_mov_b32_e32 v9, 0
	v_mov_b32_e32 v10, 0
	v_ashrrev_i32_e32 v8, 31, v7
	s_and_saveexec_b64 s[18:19], s[2:3]
	s_cbranch_execz .LBB35_18
; %bb.10:                               ;   in Loop: Header=BB35_9 Depth=1
	v_lshlrev_b64 v[9:10], 3, v[7:8]
	v_mov_b32_e32 v5, s15
	v_add_co_u32_e64 v28, s[4:5], s14, v9
	v_addc_co_u32_e64 v29, s[4:5], v5, v10, s[4:5]
	v_mov_b32_e32 v9, 0
	v_cmp_gt_i32_e32 vcc, s22, v7
	v_mov_b32_e32 v10, 0
	s_mov_b64 s[20:21], 0
	v_mov_b32_e32 v30, v25
	s_branch .LBB35_12
.LBB35_11:                              ;   in Loop: Header=BB35_12 Depth=2
	s_or_b64 exec, exec, s[24:25]
	v_add_u32_e32 v30, 32, v30
	v_cmp_ge_i32_e64 s[4:5], v30, v26
	s_or_b64 s[20:21], s[4:5], s[20:21]
	s_andn2_b64 exec, exec, s[20:21]
	s_cbranch_execz .LBB35_17
.LBB35_12:                              ;   Parent Loop BB35_9 Depth=1
                                        ; =>  This Loop Header: Depth=2
                                        ;       Child Loop BB35_16 Depth 3
	v_add_u32_e32 v13, v30, v16
	v_mov_b32_e32 v11, 0
	v_mov_b32_e32 v14, 0
	v_cmp_lt_i32_e64 s[4:5], v13, v26
	v_mov_b32_e32 v12, 0
	v_mov_b32_e32 v15, 0
	;; [unrolled: 1-line block ×3, first 2 shown]
	s_and_saveexec_b64 s[24:25], s[4:5]
	s_cbranch_execz .LBB35_14
; %bb.13:                               ;   in Loop: Header=BB35_12 Depth=2
	v_ashrrev_i32_e32 v14, 31, v13
	v_lshlrev_b64 v[11:12], 2, v[13:14]
	v_mov_b32_e32 v5, s11
	v_add_co_u32_e64 v11, s[4:5], s10, v11
	v_lshlrev_b32_e32 v13, 2, v13
	v_addc_co_u32_e64 v12, s[4:5], v5, v12, s[4:5]
	v_or_b32_e32 v5, v13, v19
	global_load_dword v35, v[11:12], off
	v_lshlrev_b64 v[11:12], 3, v[5:6]
	v_mov_b32_e32 v5, s13
	v_add_co_u32_e64 v31, s[4:5], s12, v11
	v_addc_co_u32_e64 v32, s[4:5], v5, v12, s[4:5]
	v_or_b32_e32 v5, v13, v20
	v_lshlrev_b64 v[11:12], 3, v[5:6]
	v_mov_b32_e32 v5, s13
	v_add_co_u32_e64 v33, s[4:5], s12, v11
	v_addc_co_u32_e64 v34, s[4:5], v5, v12, s[4:5]
	global_load_dwordx2 v[11:12], v[31:32], off
	global_load_dwordx2 v[14:15], v[33:34], off
	s_waitcnt vmcnt(2)
	v_subrev_u32_e32 v5, s17, v35
	v_lshlrev_b32_e32 v5, 1, v5
.LBB35_14:                              ;   in Loop: Header=BB35_12 Depth=2
	s_or_b64 exec, exec, s[24:25]
	ds_write_b32 v18, v5
	s_waitcnt vmcnt(0)
	ds_write2_b64 v27, v[11:12], v[14:15] offset1:1
	s_waitcnt lgkmcnt(0)
	; wave barrier
	s_and_saveexec_b64 s[24:25], vcc
	s_cbranch_execz .LBB35_11
; %bb.15:                               ;   in Loop: Header=BB35_12 Depth=2
	s_mov_b32 s16, 0
	v_mov_b32_e32 v5, v17
.LBB35_16:                              ;   Parent Loop BB35_9 Depth=1
                                        ;     Parent Loop BB35_12 Depth=2
                                        ; =>    This Inner Loop Header: Depth=3
	v_add_u32_e32 v11, s16, v0
	ds_read_b64 v[11:12], v11
	s_add_i32 s16, s16, 8
	s_cmpk_lg_i32 s16, 0x80
	s_waitcnt lgkmcnt(0)
	v_ashrrev_i32_e32 v15, 31, v11
	v_mul_lo_u32 v33, s7, v11
	v_mad_u64_u32 v[13:14], s[4:5], s6, v11, 0
	v_mul_lo_u32 v15, s6, v15
	v_add_u32_e32 v11, 1, v11
	v_ashrrev_i32_e32 v34, 31, v12
	v_mul_lo_u32 v39, s7, v12
	v_add3_u32 v14, v14, v15, v33
	v_lshlrev_b64 v[13:14], 3, v[13:14]
	v_mad_u64_u32 v[31:32], s[4:5], s6, v12, 0
	v_add_u32_e32 v37, 1, v12
	v_ashrrev_i32_e32 v35, 31, v11
	v_mul_lo_u32 v38, s7, v11
	v_mad_u64_u32 v[11:12], s[4:5], s6, v11, 0
	v_add_co_u32_e64 v13, s[4:5], v28, v13
	v_mul_lo_u32 v42, s6, v35
	v_addc_co_u32_e64 v14, s[4:5], v29, v14, s[4:5]
	global_load_dwordx2 v[35:36], v[13:14], off
	v_add3_u32 v12, v12, v42, v38
	v_lshlrev_b64 v[11:12], 3, v[11:12]
	v_mad_u64_u32 v[13:14], s[4:5], s6, v37, 0
	v_add_co_u32_e64 v11, s[4:5], v28, v11
	v_mul_lo_u32 v34, s6, v34
	v_addc_co_u32_e64 v12, s[4:5], v29, v12, s[4:5]
	v_ashrrev_i32_e32 v40, 31, v37
	v_mul_lo_u32 v41, s7, v37
	global_load_dwordx2 v[37:38], v[11:12], off
	v_add3_u32 v32, v32, v34, v39
	v_lshlrev_b64 v[11:12], 3, v[31:32]
	v_mul_lo_u32 v15, s6, v40
	v_add_co_u32_e64 v11, s[4:5], v28, v11
	v_addc_co_u32_e64 v12, s[4:5], v29, v12, s[4:5]
	global_load_dwordx2 v[39:40], v[11:12], off
	v_add3_u32 v14, v14, v15, v41
	v_lshlrev_b64 v[11:12], 3, v[13:14]
	v_add_co_u32_e64 v11, s[4:5], v28, v11
	v_addc_co_u32_e64 v12, s[4:5], v29, v12, s[4:5]
	global_load_dwordx2 v[41:42], v[11:12], off
	ds_read_b128 v[11:14], v5
	ds_read2_b64 v[31:34], v5 offset0:3 offset1:4
	v_add_u32_e32 v5, 48, v5
	s_waitcnt vmcnt(3) lgkmcnt(1)
	v_fma_f64 v[9:10], v[11:12], v[35:36], v[9:10]
	s_waitcnt vmcnt(2)
	v_fma_f64 v[9:10], v[13:14], v[37:38], v[9:10]
	s_waitcnt vmcnt(1) lgkmcnt(0)
	v_fma_f64 v[9:10], v[31:32], v[39:40], v[9:10]
	s_waitcnt vmcnt(0)
	v_fma_f64 v[9:10], v[33:34], v[41:42], v[9:10]
	s_cbranch_scc1 .LBB35_16
	s_branch .LBB35_11
.LBB35_17:                              ;   in Loop: Header=BB35_9 Depth=1
	s_or_b64 exec, exec, s[20:21]
.LBB35_18:                              ;   in Loop: Header=BB35_9 Depth=1
	s_or_b64 exec, exec, s[18:19]
	v_cmp_gt_i32_e32 vcc, s22, v7
	s_and_saveexec_b64 s[4:5], vcc
	s_cbranch_execz .LBB35_8
; %bb.19:                               ;   in Loop: Header=BB35_9 Depth=1
	s_and_saveexec_b64 s[18:19], s[0:1]
	s_xor_b64 s[18:19], exec, s[18:19]
	s_cbranch_execz .LBB35_24
; %bb.20:                               ;   in Loop: Header=BB35_9 Depth=1
	s_mov_b64 s[20:21], -1
	s_and_b64 vcc, exec, s[8:9]
	s_cbranch_vccz .LBB35_22
; %bb.21:                               ;   in Loop: Header=BB35_9 Depth=1
	v_lshlrev_b64 v[11:12], 3, v[7:8]
	v_mul_f64 v[28:29], v[1:2], v[9:10]
	v_add_co_u32_e32 v11, vcc, v23, v11
	v_addc_co_u32_e32 v12, vcc, v24, v12, vcc
	global_load_dwordx2 v[13:14], v[11:12], off
	s_mov_b64 s[20:21], 0
	s_waitcnt vmcnt(0)
	v_fma_f64 v[13:14], v[3:4], v[13:14], v[28:29]
	global_store_dwordx2 v[11:12], v[13:14], off
.LBB35_22:                              ;   in Loop: Header=BB35_9 Depth=1
	s_andn2_b64 vcc, exec, s[20:21]
	s_cbranch_vccnz .LBB35_24
; %bb.23:                               ;   in Loop: Header=BB35_9 Depth=1
	v_mul_lo_u32 v5, s27, v7
	v_mul_lo_u32 v11, s26, v8
	v_mad_u64_u32 v[7:8], s[20:21], s26, v7, 0
	v_mul_f64 v[9:10], v[1:2], v[9:10]
	v_add3_u32 v8, v8, v11, v5
	v_lshlrev_b64 v[7:8], 3, v[7:8]
	v_add_co_u32_e32 v7, vcc, v21, v7
	v_addc_co_u32_e32 v8, vcc, v22, v8, vcc
	global_load_dwordx2 v[11:12], v[7:8], off
	s_waitcnt vmcnt(0)
	v_fma_f64 v[9:10], v[3:4], v[11:12], v[9:10]
	global_store_dwordx2 v[7:8], v[9:10], off
                                        ; implicit-def: $vgpr9_vgpr10
                                        ; implicit-def: $vgpr7
.LBB35_24:                              ;   in Loop: Header=BB35_9 Depth=1
	s_andn2_saveexec_b64 s[18:19], s[18:19]
	s_cbranch_execz .LBB35_8
; %bb.25:                               ;   in Loop: Header=BB35_9 Depth=1
	v_mul_f64 v[9:10], v[1:2], v[9:10]
	s_mov_b64 s[18:19], -1
	s_and_b64 vcc, exec, s[8:9]
	s_cbranch_vccz .LBB35_27
; %bb.26:                               ;   in Loop: Header=BB35_9 Depth=1
	v_lshlrev_b64 v[11:12], 3, v[7:8]
	s_mov_b64 s[18:19], 0
	v_add_co_u32_e32 v11, vcc, v23, v11
	v_addc_co_u32_e32 v12, vcc, v24, v12, vcc
	global_store_dwordx2 v[11:12], v[9:10], off
.LBB35_27:                              ;   in Loop: Header=BB35_9 Depth=1
	s_andn2_b64 vcc, exec, s[18:19]
	s_cbranch_vccnz .LBB35_8
; %bb.28:                               ;   in Loop: Header=BB35_9 Depth=1
	v_mul_lo_u32 v5, s27, v7
	v_mul_lo_u32 v11, s26, v8
	v_mad_u64_u32 v[7:8], s[18:19], s26, v7, 0
	v_add3_u32 v8, v8, v11, v5
	v_lshlrev_b64 v[7:8], 3, v[7:8]
	v_add_co_u32_e32 v7, vcc, v21, v7
	v_addc_co_u32_e32 v8, vcc, v22, v8, vcc
	global_store_dwordx2 v[7:8], v[9:10], off
	s_branch .LBB35_8
.LBB35_29:
	s_endpgm
	.section	.rodata,"a",@progbits
	.p2align	6, 0x0
	.amdhsa_kernel _ZN9rocsparseL29bsrmmnt_small_blockdim_kernelILj64ELj32ELj2EiiddddEEv20rocsparse_direction_T3_S2_llNS_24const_host_device_scalarIT7_EEPKT2_PKS2_PKT4_PKT5_llS5_PT6_ll16rocsparse_order_21rocsparse_index_base_b
		.amdhsa_group_segment_fixed_size 1792
		.amdhsa_private_segment_fixed_size 0
		.amdhsa_kernarg_size 392
		.amdhsa_user_sgpr_count 6
		.amdhsa_user_sgpr_private_segment_buffer 1
		.amdhsa_user_sgpr_dispatch_ptr 0
		.amdhsa_user_sgpr_queue_ptr 0
		.amdhsa_user_sgpr_kernarg_segment_ptr 1
		.amdhsa_user_sgpr_dispatch_id 0
		.amdhsa_user_sgpr_flat_scratch_init 0
		.amdhsa_user_sgpr_private_segment_size 0
		.amdhsa_uses_dynamic_stack 0
		.amdhsa_system_sgpr_private_segment_wavefront_offset 0
		.amdhsa_system_sgpr_workgroup_id_x 1
		.amdhsa_system_sgpr_workgroup_id_y 0
		.amdhsa_system_sgpr_workgroup_id_z 0
		.amdhsa_system_sgpr_workgroup_info 0
		.amdhsa_system_vgpr_workitem_id 0
		.amdhsa_next_free_vgpr 43
		.amdhsa_next_free_sgpr 61
		.amdhsa_reserve_vcc 1
		.amdhsa_reserve_flat_scratch 0
		.amdhsa_float_round_mode_32 0
		.amdhsa_float_round_mode_16_64 0
		.amdhsa_float_denorm_mode_32 3
		.amdhsa_float_denorm_mode_16_64 3
		.amdhsa_dx10_clamp 1
		.amdhsa_ieee_mode 1
		.amdhsa_fp16_overflow 0
		.amdhsa_exception_fp_ieee_invalid_op 0
		.amdhsa_exception_fp_denorm_src 0
		.amdhsa_exception_fp_ieee_div_zero 0
		.amdhsa_exception_fp_ieee_overflow 0
		.amdhsa_exception_fp_ieee_underflow 0
		.amdhsa_exception_fp_ieee_inexact 0
		.amdhsa_exception_int_div_zero 0
	.end_amdhsa_kernel
	.section	.text._ZN9rocsparseL29bsrmmnt_small_blockdim_kernelILj64ELj32ELj2EiiddddEEv20rocsparse_direction_T3_S2_llNS_24const_host_device_scalarIT7_EEPKT2_PKS2_PKT4_PKT5_llS5_PT6_ll16rocsparse_order_21rocsparse_index_base_b,"axG",@progbits,_ZN9rocsparseL29bsrmmnt_small_blockdim_kernelILj64ELj32ELj2EiiddddEEv20rocsparse_direction_T3_S2_llNS_24const_host_device_scalarIT7_EEPKT2_PKS2_PKT4_PKT5_llS5_PT6_ll16rocsparse_order_21rocsparse_index_base_b,comdat
.Lfunc_end35:
	.size	_ZN9rocsparseL29bsrmmnt_small_blockdim_kernelILj64ELj32ELj2EiiddddEEv20rocsparse_direction_T3_S2_llNS_24const_host_device_scalarIT7_EEPKT2_PKS2_PKT4_PKT5_llS5_PT6_ll16rocsparse_order_21rocsparse_index_base_b, .Lfunc_end35-_ZN9rocsparseL29bsrmmnt_small_blockdim_kernelILj64ELj32ELj2EiiddddEEv20rocsparse_direction_T3_S2_llNS_24const_host_device_scalarIT7_EEPKT2_PKS2_PKT4_PKT5_llS5_PT6_ll16rocsparse_order_21rocsparse_index_base_b
                                        ; -- End function
	.set _ZN9rocsparseL29bsrmmnt_small_blockdim_kernelILj64ELj32ELj2EiiddddEEv20rocsparse_direction_T3_S2_llNS_24const_host_device_scalarIT7_EEPKT2_PKS2_PKT4_PKT5_llS5_PT6_ll16rocsparse_order_21rocsparse_index_base_b.num_vgpr, 43
	.set _ZN9rocsparseL29bsrmmnt_small_blockdim_kernelILj64ELj32ELj2EiiddddEEv20rocsparse_direction_T3_S2_llNS_24const_host_device_scalarIT7_EEPKT2_PKS2_PKT4_PKT5_llS5_PT6_ll16rocsparse_order_21rocsparse_index_base_b.num_agpr, 0
	.set _ZN9rocsparseL29bsrmmnt_small_blockdim_kernelILj64ELj32ELj2EiiddddEEv20rocsparse_direction_T3_S2_llNS_24const_host_device_scalarIT7_EEPKT2_PKS2_PKT4_PKT5_llS5_PT6_ll16rocsparse_order_21rocsparse_index_base_b.numbered_sgpr, 28
	.set _ZN9rocsparseL29bsrmmnt_small_blockdim_kernelILj64ELj32ELj2EiiddddEEv20rocsparse_direction_T3_S2_llNS_24const_host_device_scalarIT7_EEPKT2_PKS2_PKT4_PKT5_llS5_PT6_ll16rocsparse_order_21rocsparse_index_base_b.num_named_barrier, 0
	.set _ZN9rocsparseL29bsrmmnt_small_blockdim_kernelILj64ELj32ELj2EiiddddEEv20rocsparse_direction_T3_S2_llNS_24const_host_device_scalarIT7_EEPKT2_PKS2_PKT4_PKT5_llS5_PT6_ll16rocsparse_order_21rocsparse_index_base_b.private_seg_size, 0
	.set _ZN9rocsparseL29bsrmmnt_small_blockdim_kernelILj64ELj32ELj2EiiddddEEv20rocsparse_direction_T3_S2_llNS_24const_host_device_scalarIT7_EEPKT2_PKS2_PKT4_PKT5_llS5_PT6_ll16rocsparse_order_21rocsparse_index_base_b.uses_vcc, 1
	.set _ZN9rocsparseL29bsrmmnt_small_blockdim_kernelILj64ELj32ELj2EiiddddEEv20rocsparse_direction_T3_S2_llNS_24const_host_device_scalarIT7_EEPKT2_PKS2_PKT4_PKT5_llS5_PT6_ll16rocsparse_order_21rocsparse_index_base_b.uses_flat_scratch, 0
	.set _ZN9rocsparseL29bsrmmnt_small_blockdim_kernelILj64ELj32ELj2EiiddddEEv20rocsparse_direction_T3_S2_llNS_24const_host_device_scalarIT7_EEPKT2_PKS2_PKT4_PKT5_llS5_PT6_ll16rocsparse_order_21rocsparse_index_base_b.has_dyn_sized_stack, 0
	.set _ZN9rocsparseL29bsrmmnt_small_blockdim_kernelILj64ELj32ELj2EiiddddEEv20rocsparse_direction_T3_S2_llNS_24const_host_device_scalarIT7_EEPKT2_PKS2_PKT4_PKT5_llS5_PT6_ll16rocsparse_order_21rocsparse_index_base_b.has_recursion, 0
	.set _ZN9rocsparseL29bsrmmnt_small_blockdim_kernelILj64ELj32ELj2EiiddddEEv20rocsparse_direction_T3_S2_llNS_24const_host_device_scalarIT7_EEPKT2_PKS2_PKT4_PKT5_llS5_PT6_ll16rocsparse_order_21rocsparse_index_base_b.has_indirect_call, 0
	.section	.AMDGPU.csdata,"",@progbits
; Kernel info:
; codeLenInByte = 1468
; TotalNumSgprs: 32
; NumVgprs: 43
; ScratchSize: 0
; MemoryBound: 0
; FloatMode: 240
; IeeeMode: 1
; LDSByteSize: 1792 bytes/workgroup (compile time only)
; SGPRBlocks: 8
; VGPRBlocks: 10
; NumSGPRsForWavesPerEU: 65
; NumVGPRsForWavesPerEU: 43
; Occupancy: 5
; WaveLimiterHint : 1
; COMPUTE_PGM_RSRC2:SCRATCH_EN: 0
; COMPUTE_PGM_RSRC2:USER_SGPR: 6
; COMPUTE_PGM_RSRC2:TRAP_HANDLER: 0
; COMPUTE_PGM_RSRC2:TGID_X_EN: 1
; COMPUTE_PGM_RSRC2:TGID_Y_EN: 0
; COMPUTE_PGM_RSRC2:TGID_Z_EN: 0
; COMPUTE_PGM_RSRC2:TIDIG_COMP_CNT: 0
	.section	.text._ZN9rocsparseL29bsrmmnt_small_blockdim_kernelILj64ELj64ELj2EiiddddEEv20rocsparse_direction_T3_S2_llNS_24const_host_device_scalarIT7_EEPKT2_PKS2_PKT4_PKT5_llS5_PT6_ll16rocsparse_order_21rocsparse_index_base_b,"axG",@progbits,_ZN9rocsparseL29bsrmmnt_small_blockdim_kernelILj64ELj64ELj2EiiddddEEv20rocsparse_direction_T3_S2_llNS_24const_host_device_scalarIT7_EEPKT2_PKS2_PKT4_PKT5_llS5_PT6_ll16rocsparse_order_21rocsparse_index_base_b,comdat
	.globl	_ZN9rocsparseL29bsrmmnt_small_blockdim_kernelILj64ELj64ELj2EiiddddEEv20rocsparse_direction_T3_S2_llNS_24const_host_device_scalarIT7_EEPKT2_PKS2_PKT4_PKT5_llS5_PT6_ll16rocsparse_order_21rocsparse_index_base_b ; -- Begin function _ZN9rocsparseL29bsrmmnt_small_blockdim_kernelILj64ELj64ELj2EiiddddEEv20rocsparse_direction_T3_S2_llNS_24const_host_device_scalarIT7_EEPKT2_PKS2_PKT4_PKT5_llS5_PT6_ll16rocsparse_order_21rocsparse_index_base_b
	.p2align	8
	.type	_ZN9rocsparseL29bsrmmnt_small_blockdim_kernelILj64ELj64ELj2EiiddddEEv20rocsparse_direction_T3_S2_llNS_24const_host_device_scalarIT7_EEPKT2_PKS2_PKT4_PKT5_llS5_PT6_ll16rocsparse_order_21rocsparse_index_base_b,@function
_ZN9rocsparseL29bsrmmnt_small_blockdim_kernelILj64ELj64ELj2EiiddddEEv20rocsparse_direction_T3_S2_llNS_24const_host_device_scalarIT7_EEPKT2_PKS2_PKT4_PKT5_llS5_PT6_ll16rocsparse_order_21rocsparse_index_base_b: ; @_ZN9rocsparseL29bsrmmnt_small_blockdim_kernelILj64ELj64ELj2EiiddddEEv20rocsparse_direction_T3_S2_llNS_24const_host_device_scalarIT7_EEPKT2_PKS2_PKT4_PKT5_llS5_PT6_ll16rocsparse_order_21rocsparse_index_base_b
; %bb.0:
	s_load_dwordx4 s[16:19], s[4:5], 0x78
	s_load_dwordx2 s[8:9], s[4:5], 0x20
	s_load_dwordx2 s[0:1], s[4:5], 0x58
	s_waitcnt lgkmcnt(0)
	s_bitcmp1_b32 s18, 0
	s_cselect_b64 s[10:11], -1, 0
	v_mov_b32_e32 v1, s8
	s_xor_b64 s[2:3], s[10:11], -1
	s_and_b64 vcc, exec, s[10:11]
	v_mov_b32_e32 v2, s9
	s_cbranch_vccnz .LBB36_2
; %bb.1:
	v_mov_b32_e32 v1, s8
	v_mov_b32_e32 v2, s9
	flat_load_dwordx2 v[1:2], v[1:2]
.LBB36_2:
	v_mov_b32_e32 v4, s1
	s_andn2_b64 vcc, exec, s[2:3]
	v_mov_b32_e32 v3, s0
	s_cbranch_vccnz .LBB36_4
; %bb.3:
	v_mov_b32_e32 v4, s1
	v_mov_b32_e32 v3, s0
	flat_load_dwordx2 v[3:4], v[3:4]
.LBB36_4:
	s_waitcnt vmcnt(0) lgkmcnt(0)
	v_cmp_neq_f64_e32 vcc, 0, v[1:2]
	v_cmp_neq_f64_e64 s[0:1], 1.0, v[3:4]
	s_or_b64 s[0:1], vcc, s[0:1]
	s_and_saveexec_b64 s[2:3], s[0:1]
	s_cbranch_execz .LBB36_29
; %bb.5:
	s_load_dword s0, s[4:5], 0x94
	s_load_dwordx4 s[20:23], s[4:5], 0x0
	s_waitcnt lgkmcnt(0)
	s_and_b32 s0, s0, 0xffff
	s_mul_i32 s6, s6, s0
	v_add_u32_e32 v5, s6, v0
	v_lshrrev_b32_e32 v6, 7, v5
	v_cmp_gt_i32_e32 vcc, s21, v6
	s_and_b64 exec, exec, vcc
	s_cbranch_execz .LBB36_29
; %bb.6:
	s_cmp_lt_i32 s22, 1
	s_cbranch_scc1 .LBB36_29
; %bb.7:
	s_load_dwordx8 s[8:15], s[4:5], 0x28
	v_lshlrev_b32_e32 v6, 2, v6
	v_lshrrev_b32_e32 v11, 6, v5
	v_bfe_u32 v5, v5, 6, 1
	s_cmp_eq_u32 s20, 0
	s_waitcnt lgkmcnt(0)
	global_load_dwordx2 v[7:8], v6, s[8:9]
	s_load_dwordx4 s[24:27], s[4:5], 0x60
	s_load_dwordx2 s[6:7], s[4:5], 0x48
	v_lshlrev_b32_e32 v13, 1, v5
	s_cselect_b64 vcc, -1, 0
	v_mov_b32_e32 v6, 0
	s_waitcnt lgkmcnt(0)
	v_mad_u64_u32 v[9:10], s[2:3], s26, v11, 0
	v_or_b32_e32 v12, 2, v5
	v_cndmask_b32_e32 v19, v5, v13, vcc
	v_mov_b32_e32 v5, v10
	v_lshlrev_b32_e32 v14, 3, v11
	v_mad_u64_u32 v[10:11], s[2:3], s27, v11, v[5:6]
	v_cmp_neq_f64_e64 s[0:1], 0, v[3:4]
	v_mov_b32_e32 v21, s25
	v_add_co_u32_e64 v20, s[2:3], s24, v14
	v_lshlrev_b64 v[9:10], 3, v[9:10]
	v_addc_co_u32_e64 v21, s[2:3], 0, v21, s[2:3]
	v_or_b32_e32 v15, 1, v13
	v_mov_b32_e32 v13, s25
	v_add_co_u32_e64 v22, s[2:3], s24, v9
	v_mov_b32_e32 v16, 0x600
	s_cmp_lg_u32 s16, 1
	v_addc_co_u32_e64 v23, s[2:3], v13, v10, s[2:3]
	s_mov_b32 s23, 0
	v_mul_u32_u24_e32 v17, 24, v0
	v_lshl_or_b32 v18, v0, 2, v16
	s_cselect_b64 s[8:9], -1, 0
	v_cndmask_b32_e32 v26, v12, v15, vcc
	s_waitcnt vmcnt(0)
	v_subrev_u32_e32 v24, s17, v7
	v_subrev_u32_e32 v25, s17, v8
	v_cmp_lt_i32_e64 s[2:3], v7, v8
	s_branch .LBB36_9
.LBB36_8:                               ;   in Loop: Header=BB36_9 Depth=1
	s_or_b64 exec, exec, s[4:5]
	s_add_i32 s23, s23, 64
	s_cmp_lt_i32 s23, s22
	s_cbranch_scc0 .LBB36_29
.LBB36_9:                               ; =>This Loop Header: Depth=1
                                        ;     Child Loop BB36_12 Depth 2
                                        ;       Child Loop BB36_16 Depth 3
	v_or_b32_e32 v7, s23, v0
	v_mov_b32_e32 v9, 0
	v_mov_b32_e32 v10, 0
	v_ashrrev_i32_e32 v8, 31, v7
	s_and_saveexec_b64 s[18:19], s[2:3]
	s_cbranch_execz .LBB36_18
; %bb.10:                               ;   in Loop: Header=BB36_9 Depth=1
	v_lshlrev_b64 v[9:10], 3, v[7:8]
	v_mov_b32_e32 v5, s15
	v_add_co_u32_e64 v27, s[4:5], s14, v9
	v_addc_co_u32_e64 v28, s[4:5], v5, v10, s[4:5]
	v_mov_b32_e32 v9, 0
	v_cmp_gt_i32_e32 vcc, s22, v7
	v_mov_b32_e32 v10, 0
	s_mov_b64 s[20:21], 0
	v_mov_b32_e32 v29, v24
	s_branch .LBB36_12
.LBB36_11:                              ;   in Loop: Header=BB36_12 Depth=2
	s_or_b64 exec, exec, s[24:25]
	v_add_u32_e32 v29, 64, v29
	v_cmp_ge_i32_e64 s[4:5], v29, v25
	s_or_b64 s[20:21], s[4:5], s[20:21]
	s_andn2_b64 exec, exec, s[20:21]
	s_cbranch_execz .LBB36_17
.LBB36_12:                              ;   Parent Loop BB36_9 Depth=1
                                        ; =>  This Loop Header: Depth=2
                                        ;       Child Loop BB36_16 Depth 3
	v_add_u32_e32 v13, v29, v0
	v_mov_b32_e32 v11, 0
	v_mov_b32_e32 v14, 0
	v_cmp_lt_i32_e64 s[4:5], v13, v25
	v_mov_b32_e32 v12, 0
	v_mov_b32_e32 v15, 0
	;; [unrolled: 1-line block ×3, first 2 shown]
	s_and_saveexec_b64 s[24:25], s[4:5]
	s_cbranch_execz .LBB36_14
; %bb.13:                               ;   in Loop: Header=BB36_12 Depth=2
	v_ashrrev_i32_e32 v14, 31, v13
	v_lshlrev_b64 v[11:12], 2, v[13:14]
	v_mov_b32_e32 v5, s11
	v_add_co_u32_e64 v11, s[4:5], s10, v11
	v_lshlrev_b32_e32 v13, 2, v13
	v_addc_co_u32_e64 v12, s[4:5], v5, v12, s[4:5]
	v_or_b32_e32 v5, v13, v19
	global_load_dword v34, v[11:12], off
	v_lshlrev_b64 v[11:12], 3, v[5:6]
	v_mov_b32_e32 v5, s13
	v_add_co_u32_e64 v30, s[4:5], s12, v11
	v_addc_co_u32_e64 v31, s[4:5], v5, v12, s[4:5]
	v_or_b32_e32 v5, v13, v26
	v_lshlrev_b64 v[11:12], 3, v[5:6]
	v_mov_b32_e32 v5, s13
	v_add_co_u32_e64 v32, s[4:5], s12, v11
	v_addc_co_u32_e64 v33, s[4:5], v5, v12, s[4:5]
	global_load_dwordx2 v[11:12], v[30:31], off
	global_load_dwordx2 v[14:15], v[32:33], off
	s_waitcnt vmcnt(2)
	v_subrev_u32_e32 v5, s17, v34
	v_lshlrev_b32_e32 v5, 1, v5
.LBB36_14:                              ;   in Loop: Header=BB36_12 Depth=2
	s_or_b64 exec, exec, s[24:25]
	ds_write_b32 v18, v5
	s_waitcnt vmcnt(0)
	ds_write2_b64 v17, v[11:12], v[14:15] offset1:1
	s_waitcnt lgkmcnt(0)
	; wave barrier
	s_and_saveexec_b64 s[24:25], vcc
	s_cbranch_execz .LBB36_11
; %bb.15:                               ;   in Loop: Header=BB36_12 Depth=2
	s_mov_b32 s16, 0
	v_mov_b32_e32 v5, 0
.LBB36_16:                              ;   Parent Loop BB36_9 Depth=1
                                        ;     Parent Loop BB36_12 Depth=2
                                        ; =>    This Inner Loop Header: Depth=3
	v_add_u32_e32 v11, s16, v16
	ds_read_b64 v[11:12], v11
	s_add_i32 s16, s16, 8
	s_cmpk_lg_i32 s16, 0x100
	s_waitcnt lgkmcnt(0)
	v_ashrrev_i32_e32 v15, 31, v11
	v_mul_lo_u32 v32, s7, v11
	v_mad_u64_u32 v[13:14], s[4:5], s6, v11, 0
	v_mul_lo_u32 v15, s6, v15
	v_add_u32_e32 v11, 1, v11
	v_ashrrev_i32_e32 v33, 31, v12
	v_mul_lo_u32 v38, s7, v12
	v_add3_u32 v14, v14, v15, v32
	v_lshlrev_b64 v[13:14], 3, v[13:14]
	v_mad_u64_u32 v[30:31], s[4:5], s6, v12, 0
	v_add_u32_e32 v36, 1, v12
	v_ashrrev_i32_e32 v34, 31, v11
	v_mul_lo_u32 v37, s7, v11
	v_mad_u64_u32 v[11:12], s[4:5], s6, v11, 0
	v_add_co_u32_e64 v13, s[4:5], v27, v13
	v_mul_lo_u32 v41, s6, v34
	v_addc_co_u32_e64 v14, s[4:5], v28, v14, s[4:5]
	global_load_dwordx2 v[34:35], v[13:14], off
	v_add3_u32 v12, v12, v41, v37
	v_lshlrev_b64 v[11:12], 3, v[11:12]
	v_mad_u64_u32 v[13:14], s[4:5], s6, v36, 0
	v_add_co_u32_e64 v11, s[4:5], v27, v11
	v_mul_lo_u32 v33, s6, v33
	v_addc_co_u32_e64 v12, s[4:5], v28, v12, s[4:5]
	v_ashrrev_i32_e32 v39, 31, v36
	v_mul_lo_u32 v40, s7, v36
	global_load_dwordx2 v[36:37], v[11:12], off
	v_add3_u32 v31, v31, v33, v38
	v_lshlrev_b64 v[11:12], 3, v[30:31]
	v_mul_lo_u32 v15, s6, v39
	v_add_co_u32_e64 v11, s[4:5], v27, v11
	v_addc_co_u32_e64 v12, s[4:5], v28, v12, s[4:5]
	global_load_dwordx2 v[38:39], v[11:12], off
	v_add3_u32 v14, v14, v15, v40
	v_lshlrev_b64 v[11:12], 3, v[13:14]
	v_add_co_u32_e64 v11, s[4:5], v27, v11
	v_addc_co_u32_e64 v12, s[4:5], v28, v12, s[4:5]
	global_load_dwordx2 v[40:41], v[11:12], off
	ds_read_b128 v[11:14], v5
	ds_read2_b64 v[30:33], v5 offset0:3 offset1:4
	v_add_u32_e32 v5, 48, v5
	s_waitcnt vmcnt(3) lgkmcnt(1)
	v_fma_f64 v[9:10], v[11:12], v[34:35], v[9:10]
	s_waitcnt vmcnt(2)
	v_fma_f64 v[9:10], v[13:14], v[36:37], v[9:10]
	s_waitcnt vmcnt(1) lgkmcnt(0)
	v_fma_f64 v[9:10], v[30:31], v[38:39], v[9:10]
	s_waitcnt vmcnt(0)
	v_fma_f64 v[9:10], v[32:33], v[40:41], v[9:10]
	s_cbranch_scc1 .LBB36_16
	s_branch .LBB36_11
.LBB36_17:                              ;   in Loop: Header=BB36_9 Depth=1
	s_or_b64 exec, exec, s[20:21]
.LBB36_18:                              ;   in Loop: Header=BB36_9 Depth=1
	s_or_b64 exec, exec, s[18:19]
	v_cmp_gt_i32_e32 vcc, s22, v7
	s_and_saveexec_b64 s[4:5], vcc
	s_cbranch_execz .LBB36_8
; %bb.19:                               ;   in Loop: Header=BB36_9 Depth=1
	s_and_saveexec_b64 s[18:19], s[0:1]
	s_xor_b64 s[18:19], exec, s[18:19]
	s_cbranch_execz .LBB36_24
; %bb.20:                               ;   in Loop: Header=BB36_9 Depth=1
	s_mov_b64 s[20:21], -1
	s_and_b64 vcc, exec, s[8:9]
	s_cbranch_vccz .LBB36_22
; %bb.21:                               ;   in Loop: Header=BB36_9 Depth=1
	v_lshlrev_b64 v[11:12], 3, v[7:8]
	v_mul_f64 v[27:28], v[1:2], v[9:10]
	v_add_co_u32_e32 v11, vcc, v22, v11
	v_addc_co_u32_e32 v12, vcc, v23, v12, vcc
	global_load_dwordx2 v[13:14], v[11:12], off
	s_mov_b64 s[20:21], 0
	s_waitcnt vmcnt(0)
	v_fma_f64 v[13:14], v[3:4], v[13:14], v[27:28]
	global_store_dwordx2 v[11:12], v[13:14], off
.LBB36_22:                              ;   in Loop: Header=BB36_9 Depth=1
	s_andn2_b64 vcc, exec, s[20:21]
	s_cbranch_vccnz .LBB36_24
; %bb.23:                               ;   in Loop: Header=BB36_9 Depth=1
	v_mul_lo_u32 v5, s27, v7
	v_mul_lo_u32 v11, s26, v8
	v_mad_u64_u32 v[7:8], s[20:21], s26, v7, 0
	v_mul_f64 v[9:10], v[1:2], v[9:10]
	v_add3_u32 v8, v8, v11, v5
	v_lshlrev_b64 v[7:8], 3, v[7:8]
	v_add_co_u32_e32 v7, vcc, v20, v7
	v_addc_co_u32_e32 v8, vcc, v21, v8, vcc
	global_load_dwordx2 v[11:12], v[7:8], off
	s_waitcnt vmcnt(0)
	v_fma_f64 v[9:10], v[3:4], v[11:12], v[9:10]
	global_store_dwordx2 v[7:8], v[9:10], off
                                        ; implicit-def: $vgpr9_vgpr10
                                        ; implicit-def: $vgpr7
.LBB36_24:                              ;   in Loop: Header=BB36_9 Depth=1
	s_andn2_saveexec_b64 s[18:19], s[18:19]
	s_cbranch_execz .LBB36_8
; %bb.25:                               ;   in Loop: Header=BB36_9 Depth=1
	v_mul_f64 v[9:10], v[1:2], v[9:10]
	s_mov_b64 s[18:19], -1
	s_and_b64 vcc, exec, s[8:9]
	s_cbranch_vccz .LBB36_27
; %bb.26:                               ;   in Loop: Header=BB36_9 Depth=1
	v_lshlrev_b64 v[11:12], 3, v[7:8]
	s_mov_b64 s[18:19], 0
	v_add_co_u32_e32 v11, vcc, v22, v11
	v_addc_co_u32_e32 v12, vcc, v23, v12, vcc
	global_store_dwordx2 v[11:12], v[9:10], off
.LBB36_27:                              ;   in Loop: Header=BB36_9 Depth=1
	s_andn2_b64 vcc, exec, s[18:19]
	s_cbranch_vccnz .LBB36_8
; %bb.28:                               ;   in Loop: Header=BB36_9 Depth=1
	v_mul_lo_u32 v5, s27, v7
	v_mul_lo_u32 v11, s26, v8
	v_mad_u64_u32 v[7:8], s[18:19], s26, v7, 0
	v_add3_u32 v8, v8, v11, v5
	v_lshlrev_b64 v[7:8], 3, v[7:8]
	v_add_co_u32_e32 v7, vcc, v20, v7
	v_addc_co_u32_e32 v8, vcc, v21, v8, vcc
	global_store_dwordx2 v[7:8], v[9:10], off
	s_branch .LBB36_8
.LBB36_29:
	s_endpgm
	.section	.rodata,"a",@progbits
	.p2align	6, 0x0
	.amdhsa_kernel _ZN9rocsparseL29bsrmmnt_small_blockdim_kernelILj64ELj64ELj2EiiddddEEv20rocsparse_direction_T3_S2_llNS_24const_host_device_scalarIT7_EEPKT2_PKS2_PKT4_PKT5_llS5_PT6_ll16rocsparse_order_21rocsparse_index_base_b
		.amdhsa_group_segment_fixed_size 1792
		.amdhsa_private_segment_fixed_size 0
		.amdhsa_kernarg_size 392
		.amdhsa_user_sgpr_count 6
		.amdhsa_user_sgpr_private_segment_buffer 1
		.amdhsa_user_sgpr_dispatch_ptr 0
		.amdhsa_user_sgpr_queue_ptr 0
		.amdhsa_user_sgpr_kernarg_segment_ptr 1
		.amdhsa_user_sgpr_dispatch_id 0
		.amdhsa_user_sgpr_flat_scratch_init 0
		.amdhsa_user_sgpr_private_segment_size 0
		.amdhsa_uses_dynamic_stack 0
		.amdhsa_system_sgpr_private_segment_wavefront_offset 0
		.amdhsa_system_sgpr_workgroup_id_x 1
		.amdhsa_system_sgpr_workgroup_id_y 0
		.amdhsa_system_sgpr_workgroup_id_z 0
		.amdhsa_system_sgpr_workgroup_info 0
		.amdhsa_system_vgpr_workitem_id 0
		.amdhsa_next_free_vgpr 42
		.amdhsa_next_free_sgpr 61
		.amdhsa_reserve_vcc 1
		.amdhsa_reserve_flat_scratch 0
		.amdhsa_float_round_mode_32 0
		.amdhsa_float_round_mode_16_64 0
		.amdhsa_float_denorm_mode_32 3
		.amdhsa_float_denorm_mode_16_64 3
		.amdhsa_dx10_clamp 1
		.amdhsa_ieee_mode 1
		.amdhsa_fp16_overflow 0
		.amdhsa_exception_fp_ieee_invalid_op 0
		.amdhsa_exception_fp_denorm_src 0
		.amdhsa_exception_fp_ieee_div_zero 0
		.amdhsa_exception_fp_ieee_overflow 0
		.amdhsa_exception_fp_ieee_underflow 0
		.amdhsa_exception_fp_ieee_inexact 0
		.amdhsa_exception_int_div_zero 0
	.end_amdhsa_kernel
	.section	.text._ZN9rocsparseL29bsrmmnt_small_blockdim_kernelILj64ELj64ELj2EiiddddEEv20rocsparse_direction_T3_S2_llNS_24const_host_device_scalarIT7_EEPKT2_PKS2_PKT4_PKT5_llS5_PT6_ll16rocsparse_order_21rocsparse_index_base_b,"axG",@progbits,_ZN9rocsparseL29bsrmmnt_small_blockdim_kernelILj64ELj64ELj2EiiddddEEv20rocsparse_direction_T3_S2_llNS_24const_host_device_scalarIT7_EEPKT2_PKS2_PKT4_PKT5_llS5_PT6_ll16rocsparse_order_21rocsparse_index_base_b,comdat
.Lfunc_end36:
	.size	_ZN9rocsparseL29bsrmmnt_small_blockdim_kernelILj64ELj64ELj2EiiddddEEv20rocsparse_direction_T3_S2_llNS_24const_host_device_scalarIT7_EEPKT2_PKS2_PKT4_PKT5_llS5_PT6_ll16rocsparse_order_21rocsparse_index_base_b, .Lfunc_end36-_ZN9rocsparseL29bsrmmnt_small_blockdim_kernelILj64ELj64ELj2EiiddddEEv20rocsparse_direction_T3_S2_llNS_24const_host_device_scalarIT7_EEPKT2_PKS2_PKT4_PKT5_llS5_PT6_ll16rocsparse_order_21rocsparse_index_base_b
                                        ; -- End function
	.set _ZN9rocsparseL29bsrmmnt_small_blockdim_kernelILj64ELj64ELj2EiiddddEEv20rocsparse_direction_T3_S2_llNS_24const_host_device_scalarIT7_EEPKT2_PKS2_PKT4_PKT5_llS5_PT6_ll16rocsparse_order_21rocsparse_index_base_b.num_vgpr, 42
	.set _ZN9rocsparseL29bsrmmnt_small_blockdim_kernelILj64ELj64ELj2EiiddddEEv20rocsparse_direction_T3_S2_llNS_24const_host_device_scalarIT7_EEPKT2_PKS2_PKT4_PKT5_llS5_PT6_ll16rocsparse_order_21rocsparse_index_base_b.num_agpr, 0
	.set _ZN9rocsparseL29bsrmmnt_small_blockdim_kernelILj64ELj64ELj2EiiddddEEv20rocsparse_direction_T3_S2_llNS_24const_host_device_scalarIT7_EEPKT2_PKS2_PKT4_PKT5_llS5_PT6_ll16rocsparse_order_21rocsparse_index_base_b.numbered_sgpr, 28
	.set _ZN9rocsparseL29bsrmmnt_small_blockdim_kernelILj64ELj64ELj2EiiddddEEv20rocsparse_direction_T3_S2_llNS_24const_host_device_scalarIT7_EEPKT2_PKS2_PKT4_PKT5_llS5_PT6_ll16rocsparse_order_21rocsparse_index_base_b.num_named_barrier, 0
	.set _ZN9rocsparseL29bsrmmnt_small_blockdim_kernelILj64ELj64ELj2EiiddddEEv20rocsparse_direction_T3_S2_llNS_24const_host_device_scalarIT7_EEPKT2_PKS2_PKT4_PKT5_llS5_PT6_ll16rocsparse_order_21rocsparse_index_base_b.private_seg_size, 0
	.set _ZN9rocsparseL29bsrmmnt_small_blockdim_kernelILj64ELj64ELj2EiiddddEEv20rocsparse_direction_T3_S2_llNS_24const_host_device_scalarIT7_EEPKT2_PKS2_PKT4_PKT5_llS5_PT6_ll16rocsparse_order_21rocsparse_index_base_b.uses_vcc, 1
	.set _ZN9rocsparseL29bsrmmnt_small_blockdim_kernelILj64ELj64ELj2EiiddddEEv20rocsparse_direction_T3_S2_llNS_24const_host_device_scalarIT7_EEPKT2_PKS2_PKT4_PKT5_llS5_PT6_ll16rocsparse_order_21rocsparse_index_base_b.uses_flat_scratch, 0
	.set _ZN9rocsparseL29bsrmmnt_small_blockdim_kernelILj64ELj64ELj2EiiddddEEv20rocsparse_direction_T3_S2_llNS_24const_host_device_scalarIT7_EEPKT2_PKS2_PKT4_PKT5_llS5_PT6_ll16rocsparse_order_21rocsparse_index_base_b.has_dyn_sized_stack, 0
	.set _ZN9rocsparseL29bsrmmnt_small_blockdim_kernelILj64ELj64ELj2EiiddddEEv20rocsparse_direction_T3_S2_llNS_24const_host_device_scalarIT7_EEPKT2_PKS2_PKT4_PKT5_llS5_PT6_ll16rocsparse_order_21rocsparse_index_base_b.has_recursion, 0
	.set _ZN9rocsparseL29bsrmmnt_small_blockdim_kernelILj64ELj64ELj2EiiddddEEv20rocsparse_direction_T3_S2_llNS_24const_host_device_scalarIT7_EEPKT2_PKS2_PKT4_PKT5_llS5_PT6_ll16rocsparse_order_21rocsparse_index_base_b.has_indirect_call, 0
	.section	.AMDGPU.csdata,"",@progbits
; Kernel info:
; codeLenInByte = 1456
; TotalNumSgprs: 32
; NumVgprs: 42
; ScratchSize: 0
; MemoryBound: 0
; FloatMode: 240
; IeeeMode: 1
; LDSByteSize: 1792 bytes/workgroup (compile time only)
; SGPRBlocks: 8
; VGPRBlocks: 10
; NumSGPRsForWavesPerEU: 65
; NumVGPRsForWavesPerEU: 42
; Occupancy: 5
; WaveLimiterHint : 1
; COMPUTE_PGM_RSRC2:SCRATCH_EN: 0
; COMPUTE_PGM_RSRC2:USER_SGPR: 6
; COMPUTE_PGM_RSRC2:TRAP_HANDLER: 0
; COMPUTE_PGM_RSRC2:TGID_X_EN: 1
; COMPUTE_PGM_RSRC2:TGID_Y_EN: 0
; COMPUTE_PGM_RSRC2:TGID_Z_EN: 0
; COMPUTE_PGM_RSRC2:TIDIG_COMP_CNT: 0
	.section	.text._ZN9rocsparseL29bsrmmnt_small_blockdim_kernelILj64ELj8ELj2EliddddEEv20rocsparse_direction_T3_S2_llNS_24const_host_device_scalarIT7_EEPKT2_PKS2_PKT4_PKT5_llS5_PT6_ll16rocsparse_order_21rocsparse_index_base_b,"axG",@progbits,_ZN9rocsparseL29bsrmmnt_small_blockdim_kernelILj64ELj8ELj2EliddddEEv20rocsparse_direction_T3_S2_llNS_24const_host_device_scalarIT7_EEPKT2_PKS2_PKT4_PKT5_llS5_PT6_ll16rocsparse_order_21rocsparse_index_base_b,comdat
	.globl	_ZN9rocsparseL29bsrmmnt_small_blockdim_kernelILj64ELj8ELj2EliddddEEv20rocsparse_direction_T3_S2_llNS_24const_host_device_scalarIT7_EEPKT2_PKS2_PKT4_PKT5_llS5_PT6_ll16rocsparse_order_21rocsparse_index_base_b ; -- Begin function _ZN9rocsparseL29bsrmmnt_small_blockdim_kernelILj64ELj8ELj2EliddddEEv20rocsparse_direction_T3_S2_llNS_24const_host_device_scalarIT7_EEPKT2_PKS2_PKT4_PKT5_llS5_PT6_ll16rocsparse_order_21rocsparse_index_base_b
	.p2align	8
	.type	_ZN9rocsparseL29bsrmmnt_small_blockdim_kernelILj64ELj8ELj2EliddddEEv20rocsparse_direction_T3_S2_llNS_24const_host_device_scalarIT7_EEPKT2_PKS2_PKT4_PKT5_llS5_PT6_ll16rocsparse_order_21rocsparse_index_base_b,@function
_ZN9rocsparseL29bsrmmnt_small_blockdim_kernelILj64ELj8ELj2EliddddEEv20rocsparse_direction_T3_S2_llNS_24const_host_device_scalarIT7_EEPKT2_PKS2_PKT4_PKT5_llS5_PT6_ll16rocsparse_order_21rocsparse_index_base_b: ; @_ZN9rocsparseL29bsrmmnt_small_blockdim_kernelILj64ELj8ELj2EliddddEEv20rocsparse_direction_T3_S2_llNS_24const_host_device_scalarIT7_EEPKT2_PKS2_PKT4_PKT5_llS5_PT6_ll16rocsparse_order_21rocsparse_index_base_b
; %bb.0:
	s_load_dwordx4 s[16:19], s[4:5], 0x78
	s_load_dwordx2 s[8:9], s[4:5], 0x20
	s_load_dwordx2 s[0:1], s[4:5], 0x58
	s_waitcnt lgkmcnt(0)
	s_bitcmp1_b32 s18, 0
	s_cselect_b64 s[10:11], -1, 0
	v_mov_b32_e32 v1, s8
	s_xor_b64 s[2:3], s[10:11], -1
	s_and_b64 vcc, exec, s[10:11]
	v_mov_b32_e32 v2, s9
	s_cbranch_vccnz .LBB37_2
; %bb.1:
	v_mov_b32_e32 v1, s8
	v_mov_b32_e32 v2, s9
	flat_load_dwordx2 v[1:2], v[1:2]
.LBB37_2:
	v_mov_b32_e32 v4, s1
	s_andn2_b64 vcc, exec, s[2:3]
	v_mov_b32_e32 v3, s0
	s_cbranch_vccnz .LBB37_4
; %bb.3:
	v_mov_b32_e32 v4, s1
	v_mov_b32_e32 v3, s0
	flat_load_dwordx2 v[3:4], v[3:4]
.LBB37_4:
	s_waitcnt vmcnt(0) lgkmcnt(0)
	v_cmp_neq_f64_e32 vcc, 0, v[1:2]
	v_cmp_neq_f64_e64 s[0:1], 1.0, v[3:4]
	s_or_b64 s[0:1], vcc, s[0:1]
	s_and_saveexec_b64 s[2:3], s[0:1]
	s_cbranch_execz .LBB37_29
; %bb.5:
	s_load_dword s0, s[4:5], 0x94
	s_load_dwordx4 s[20:23], s[4:5], 0x0
	s_waitcnt lgkmcnt(0)
	s_and_b32 s0, s0, 0xffff
	s_mul_i32 s6, s6, s0
	v_add_u32_e32 v5, s6, v0
	v_lshrrev_b32_e32 v6, 4, v5
	v_cmp_gt_i32_e32 vcc, s21, v6
	s_and_b64 exec, exec, vcc
	s_cbranch_execz .LBB37_29
; %bb.6:
	s_cmp_lt_i32 s22, 1
	s_cbranch_scc1 .LBB37_29
; %bb.7:
	s_load_dwordx8 s[8:15], s[4:5], 0x28
	v_lshlrev_b32_e32 v6, 3, v6
	s_cmp_lg_u32 s16, 1
	v_lshrrev_b32_e32 v7, 3, v5
	v_and_b32_e32 v13, -8, v5
	s_waitcnt lgkmcnt(0)
	global_load_dwordx4 v[9:12], v6, s[8:9]
	s_load_dwordx4 s[24:27], s[4:5], 0x60
	s_load_dwordx2 s[6:7], s[4:5], 0x48
	s_cselect_b64 s[8:9], -1, 0
	s_cmp_eq_u32 s20, 0
	s_cselect_b64 s[2:3], -1, 0
	v_bfe_u32 v6, v5, 3, 1
	v_cndmask_b32_e64 v5, 0, 1, s[2:3]
	v_and_b32_e32 v21, 7, v0
	v_lshrrev_b32_e32 v8, 3, v0
	v_mov_b32_e32 v0, 0x600
	v_lshlrev_b32_e32 v5, v5, v6
	v_lshl_or_b32 v0, v8, 5, v0
	v_mul_u32_u24_e32 v22, 0xc0, v8
	s_and_b64 s[2:3], s[2:3], exec
	v_lshlrev_b32_e32 v8, 3, v5
	s_waitcnt lgkmcnt(0)
	v_mad_u64_u32 v[5:6], s[2:3], s26, v7, 0
	v_mov_b32_e32 v16, s25
	v_add_co_u32_e32 v24, vcc, s24, v13
	v_mad_u64_u32 v[6:7], s[2:3], s27, v7, v[6:7]
	v_addc_co_u32_e32 v25, vcc, 0, v16, vcc
	v_cmp_neq_f64_e64 s[0:1], 0, v[3:4]
	v_mov_b32_e32 v17, s13
	v_add_co_u32_e32 v26, vcc, s12, v8
	v_lshlrev_b64 v[5:6], 3, v[5:6]
	v_addc_co_u32_e32 v27, vcc, 0, v17, vcc
	v_mov_b32_e32 v15, s25
	v_add_co_u32_e32 v28, vcc, s24, v5
	v_addc_co_u32_e32 v29, vcc, v15, v6, vcc
	v_mul_u32_u24_e32 v14, 24, v21
	s_mov_b32 s23, 0
	v_lshl_or_b32 v23, v21, 2, v0
	s_cselect_b32 s16, 8, 16
	v_add_u32_e32 v30, v22, v14
	s_waitcnt vmcnt(0)
	v_subrev_co_u32_e32 v5, vcc, s17, v9
	v_subbrev_co_u32_e32 v6, vcc, 0, v10, vcc
	v_subrev_co_u32_e32 v7, vcc, s17, v11
	v_cmp_lt_i64_e64 s[2:3], v[9:10], v[11:12]
	v_subbrev_co_u32_e32 v8, vcc, 0, v12, vcc
	s_branch .LBB37_9
.LBB37_8:                               ;   in Loop: Header=BB37_9 Depth=1
	s_or_b64 exec, exec, s[4:5]
	s_add_i32 s23, s23, 8
	s_cmp_lt_i32 s23, s22
	s_cbranch_scc0 .LBB37_29
.LBB37_9:                               ; =>This Loop Header: Depth=1
                                        ;     Child Loop BB37_12 Depth 2
                                        ;       Child Loop BB37_16 Depth 3
	v_or_b32_e32 v9, s23, v21
	v_mov_b32_e32 v11, 0
	v_mov_b32_e32 v12, 0
	v_ashrrev_i32_e32 v10, 31, v9
	s_and_saveexec_b64 s[12:13], s[2:3]
	s_cbranch_execz .LBB37_18
; %bb.10:                               ;   in Loop: Header=BB37_9 Depth=1
	v_lshlrev_b64 v[11:12], 3, v[9:10]
	v_mov_b32_e32 v13, s15
	v_add_co_u32_e64 v31, s[4:5], s14, v11
	v_addc_co_u32_e64 v32, s[4:5], v13, v12, s[4:5]
	v_mov_b32_e32 v11, 0
	v_mov_b32_e32 v14, v6
	v_cmp_gt_i32_e32 vcc, s22, v9
	v_mov_b32_e32 v12, 0
	s_mov_b64 s[18:19], 0
	v_mov_b32_e32 v13, v5
	s_branch .LBB37_12
.LBB37_11:                              ;   in Loop: Header=BB37_12 Depth=2
	s_or_b64 exec, exec, s[20:21]
	v_add_co_u32_e64 v13, s[4:5], 8, v13
	v_addc_co_u32_e64 v14, s[4:5], 0, v14, s[4:5]
	v_cmp_ge_i64_e64 s[4:5], v[13:14], v[7:8]
	s_or_b64 s[18:19], s[4:5], s[18:19]
	s_andn2_b64 exec, exec, s[18:19]
	s_cbranch_execz .LBB37_17
.LBB37_12:                              ;   Parent Loop BB37_9 Depth=1
                                        ; =>  This Loop Header: Depth=2
                                        ;       Child Loop BB37_16 Depth 3
	v_add_co_u32_e64 v17, s[4:5], v13, v21
	v_addc_co_u32_e64 v18, s[4:5], 0, v14, s[4:5]
	v_cmp_lt_i64_e64 s[4:5], v[17:18], v[7:8]
	v_mov_b32_e32 v15, 0
	v_mov_b32_e32 v19, 0
	;; [unrolled: 1-line block ×5, first 2 shown]
	s_and_saveexec_b64 s[20:21], s[4:5]
	s_cbranch_execz .LBB37_14
; %bb.13:                               ;   in Loop: Header=BB37_12 Depth=2
	v_lshlrev_b64 v[15:16], 2, v[17:18]
	v_mov_b32_e32 v19, s11
	v_add_co_u32_e64 v15, s[4:5], s10, v15
	v_addc_co_u32_e64 v16, s[4:5], v19, v16, s[4:5]
	global_load_dword v35, v[15:16], off
	v_lshlrev_b64 v[15:16], 5, v[17:18]
	v_add_co_u32_e64 v17, s[4:5], v26, v15
	v_addc_co_u32_e64 v18, s[4:5], v27, v16, s[4:5]
	v_add_co_u32_e64 v33, s[4:5], s16, v17
	v_addc_co_u32_e64 v34, s[4:5], 0, v18, s[4:5]
	global_load_dwordx2 v[15:16], v[17:18], off
	global_load_dwordx2 v[19:20], v[33:34], off
	s_waitcnt vmcnt(2)
	v_subrev_u32_e32 v17, s17, v35
	v_lshlrev_b32_e32 v33, 1, v17
.LBB37_14:                              ;   in Loop: Header=BB37_12 Depth=2
	s_or_b64 exec, exec, s[20:21]
	ds_write_b32 v23, v33
	s_waitcnt vmcnt(0)
	ds_write2_b64 v30, v[15:16], v[19:20] offset1:1
	s_waitcnt lgkmcnt(0)
	; wave barrier
	s_and_saveexec_b64 s[20:21], vcc
	s_cbranch_execz .LBB37_11
; %bb.15:                               ;   in Loop: Header=BB37_12 Depth=2
	s_mov_b32 s24, 0
	v_mov_b32_e32 v15, v22
.LBB37_16:                              ;   Parent Loop BB37_9 Depth=1
                                        ;     Parent Loop BB37_12 Depth=2
                                        ; =>    This Inner Loop Header: Depth=3
	v_add_u32_e32 v16, s24, v0
	ds_read_b64 v[16:17], v16
	s_add_i32 s24, s24, 8
	s_cmp_lg_u32 s24, 32
	s_waitcnt lgkmcnt(0)
	v_ashrrev_i32_e32 v20, 31, v16
	v_mul_lo_u32 v35, s7, v16
	v_mad_u64_u32 v[18:19], s[4:5], s6, v16, 0
	v_mul_lo_u32 v20, s6, v20
	v_add_u32_e32 v16, 1, v16
	v_ashrrev_i32_e32 v36, 31, v17
	v_mul_lo_u32 v41, s7, v17
	v_add3_u32 v19, v19, v20, v35
	v_lshlrev_b64 v[18:19], 3, v[18:19]
	v_mad_u64_u32 v[33:34], s[4:5], s6, v17, 0
	v_add_u32_e32 v39, 1, v17
	v_ashrrev_i32_e32 v37, 31, v16
	v_mul_lo_u32 v40, s7, v16
	v_mad_u64_u32 v[16:17], s[4:5], s6, v16, 0
	v_add_co_u32_e64 v18, s[4:5], v31, v18
	v_mul_lo_u32 v44, s6, v37
	v_addc_co_u32_e64 v19, s[4:5], v32, v19, s[4:5]
	global_load_dwordx2 v[37:38], v[18:19], off
	v_add3_u32 v17, v17, v44, v40
	v_lshlrev_b64 v[16:17], 3, v[16:17]
	v_mad_u64_u32 v[18:19], s[4:5], s6, v39, 0
	v_add_co_u32_e64 v16, s[4:5], v31, v16
	v_mul_lo_u32 v36, s6, v36
	v_addc_co_u32_e64 v17, s[4:5], v32, v17, s[4:5]
	v_ashrrev_i32_e32 v42, 31, v39
	v_mul_lo_u32 v43, s7, v39
	global_load_dwordx2 v[39:40], v[16:17], off
	v_add3_u32 v34, v34, v36, v41
	v_lshlrev_b64 v[16:17], 3, v[33:34]
	v_mul_lo_u32 v20, s6, v42
	v_add_co_u32_e64 v16, s[4:5], v31, v16
	v_addc_co_u32_e64 v17, s[4:5], v32, v17, s[4:5]
	global_load_dwordx2 v[41:42], v[16:17], off
	v_add3_u32 v19, v19, v20, v43
	v_lshlrev_b64 v[16:17], 3, v[18:19]
	v_add_co_u32_e64 v16, s[4:5], v31, v16
	v_addc_co_u32_e64 v17, s[4:5], v32, v17, s[4:5]
	global_load_dwordx2 v[43:44], v[16:17], off
	ds_read_b128 v[16:19], v15
	ds_read2_b64 v[33:36], v15 offset0:3 offset1:4
	v_add_u32_e32 v15, 48, v15
	s_waitcnt vmcnt(3) lgkmcnt(1)
	v_fma_f64 v[11:12], v[16:17], v[37:38], v[11:12]
	s_waitcnt vmcnt(2)
	v_fma_f64 v[11:12], v[18:19], v[39:40], v[11:12]
	s_waitcnt vmcnt(1) lgkmcnt(0)
	v_fma_f64 v[11:12], v[33:34], v[41:42], v[11:12]
	s_waitcnt vmcnt(0)
	v_fma_f64 v[11:12], v[35:36], v[43:44], v[11:12]
	s_cbranch_scc1 .LBB37_16
	s_branch .LBB37_11
.LBB37_17:                              ;   in Loop: Header=BB37_9 Depth=1
	s_or_b64 exec, exec, s[18:19]
.LBB37_18:                              ;   in Loop: Header=BB37_9 Depth=1
	s_or_b64 exec, exec, s[12:13]
	v_cmp_gt_i32_e32 vcc, s22, v9
	s_and_saveexec_b64 s[4:5], vcc
	s_cbranch_execz .LBB37_8
; %bb.19:                               ;   in Loop: Header=BB37_9 Depth=1
	s_and_saveexec_b64 s[12:13], s[0:1]
	s_xor_b64 s[12:13], exec, s[12:13]
	s_cbranch_execz .LBB37_24
; %bb.20:                               ;   in Loop: Header=BB37_9 Depth=1
	s_mov_b64 s[18:19], -1
	s_and_b64 vcc, exec, s[8:9]
	s_cbranch_vccz .LBB37_22
; %bb.21:                               ;   in Loop: Header=BB37_9 Depth=1
	v_lshlrev_b64 v[13:14], 3, v[9:10]
	v_mul_f64 v[17:18], v[1:2], v[11:12]
	v_add_co_u32_e32 v13, vcc, v28, v13
	v_addc_co_u32_e32 v14, vcc, v29, v14, vcc
	global_load_dwordx2 v[15:16], v[13:14], off
	s_mov_b64 s[18:19], 0
	s_waitcnt vmcnt(0)
	v_fma_f64 v[15:16], v[3:4], v[15:16], v[17:18]
	global_store_dwordx2 v[13:14], v[15:16], off
.LBB37_22:                              ;   in Loop: Header=BB37_9 Depth=1
	s_andn2_b64 vcc, exec, s[18:19]
	s_cbranch_vccnz .LBB37_24
; %bb.23:                               ;   in Loop: Header=BB37_9 Depth=1
	v_mul_lo_u32 v13, s27, v9
	v_mul_lo_u32 v14, s26, v10
	v_mad_u64_u32 v[9:10], s[18:19], s26, v9, 0
	v_mul_f64 v[11:12], v[1:2], v[11:12]
	v_add3_u32 v10, v10, v14, v13
	v_lshlrev_b64 v[9:10], 3, v[9:10]
	v_add_co_u32_e32 v9, vcc, v24, v9
	v_addc_co_u32_e32 v10, vcc, v25, v10, vcc
	global_load_dwordx2 v[13:14], v[9:10], off
	s_waitcnt vmcnt(0)
	v_fma_f64 v[11:12], v[3:4], v[13:14], v[11:12]
	global_store_dwordx2 v[9:10], v[11:12], off
                                        ; implicit-def: $vgpr11_vgpr12
                                        ; implicit-def: $vgpr9
.LBB37_24:                              ;   in Loop: Header=BB37_9 Depth=1
	s_andn2_saveexec_b64 s[12:13], s[12:13]
	s_cbranch_execz .LBB37_8
; %bb.25:                               ;   in Loop: Header=BB37_9 Depth=1
	v_mul_f64 v[11:12], v[1:2], v[11:12]
	s_mov_b64 s[12:13], -1
	s_and_b64 vcc, exec, s[8:9]
	s_cbranch_vccz .LBB37_27
; %bb.26:                               ;   in Loop: Header=BB37_9 Depth=1
	v_lshlrev_b64 v[13:14], 3, v[9:10]
	s_mov_b64 s[12:13], 0
	v_add_co_u32_e32 v13, vcc, v28, v13
	v_addc_co_u32_e32 v14, vcc, v29, v14, vcc
	global_store_dwordx2 v[13:14], v[11:12], off
.LBB37_27:                              ;   in Loop: Header=BB37_9 Depth=1
	s_andn2_b64 vcc, exec, s[12:13]
	s_cbranch_vccnz .LBB37_8
; %bb.28:                               ;   in Loop: Header=BB37_9 Depth=1
	v_mul_lo_u32 v13, s27, v9
	v_mul_lo_u32 v14, s26, v10
	v_mad_u64_u32 v[9:10], s[12:13], s26, v9, 0
	v_add3_u32 v10, v10, v14, v13
	v_lshlrev_b64 v[9:10], 3, v[9:10]
	v_add_co_u32_e32 v9, vcc, v24, v9
	v_addc_co_u32_e32 v10, vcc, v25, v10, vcc
	global_store_dwordx2 v[9:10], v[11:12], off
	s_branch .LBB37_8
.LBB37_29:
	s_endpgm
	.section	.rodata,"a",@progbits
	.p2align	6, 0x0
	.amdhsa_kernel _ZN9rocsparseL29bsrmmnt_small_blockdim_kernelILj64ELj8ELj2EliddddEEv20rocsparse_direction_T3_S2_llNS_24const_host_device_scalarIT7_EEPKT2_PKS2_PKT4_PKT5_llS5_PT6_ll16rocsparse_order_21rocsparse_index_base_b
		.amdhsa_group_segment_fixed_size 1792
		.amdhsa_private_segment_fixed_size 0
		.amdhsa_kernarg_size 392
		.amdhsa_user_sgpr_count 6
		.amdhsa_user_sgpr_private_segment_buffer 1
		.amdhsa_user_sgpr_dispatch_ptr 0
		.amdhsa_user_sgpr_queue_ptr 0
		.amdhsa_user_sgpr_kernarg_segment_ptr 1
		.amdhsa_user_sgpr_dispatch_id 0
		.amdhsa_user_sgpr_flat_scratch_init 0
		.amdhsa_user_sgpr_private_segment_size 0
		.amdhsa_uses_dynamic_stack 0
		.amdhsa_system_sgpr_private_segment_wavefront_offset 0
		.amdhsa_system_sgpr_workgroup_id_x 1
		.amdhsa_system_sgpr_workgroup_id_y 0
		.amdhsa_system_sgpr_workgroup_id_z 0
		.amdhsa_system_sgpr_workgroup_info 0
		.amdhsa_system_vgpr_workitem_id 0
		.amdhsa_next_free_vgpr 45
		.amdhsa_next_free_sgpr 61
		.amdhsa_reserve_vcc 1
		.amdhsa_reserve_flat_scratch 0
		.amdhsa_float_round_mode_32 0
		.amdhsa_float_round_mode_16_64 0
		.amdhsa_float_denorm_mode_32 3
		.amdhsa_float_denorm_mode_16_64 3
		.amdhsa_dx10_clamp 1
		.amdhsa_ieee_mode 1
		.amdhsa_fp16_overflow 0
		.amdhsa_exception_fp_ieee_invalid_op 0
		.amdhsa_exception_fp_denorm_src 0
		.amdhsa_exception_fp_ieee_div_zero 0
		.amdhsa_exception_fp_ieee_overflow 0
		.amdhsa_exception_fp_ieee_underflow 0
		.amdhsa_exception_fp_ieee_inexact 0
		.amdhsa_exception_int_div_zero 0
	.end_amdhsa_kernel
	.section	.text._ZN9rocsparseL29bsrmmnt_small_blockdim_kernelILj64ELj8ELj2EliddddEEv20rocsparse_direction_T3_S2_llNS_24const_host_device_scalarIT7_EEPKT2_PKS2_PKT4_PKT5_llS5_PT6_ll16rocsparse_order_21rocsparse_index_base_b,"axG",@progbits,_ZN9rocsparseL29bsrmmnt_small_blockdim_kernelILj64ELj8ELj2EliddddEEv20rocsparse_direction_T3_S2_llNS_24const_host_device_scalarIT7_EEPKT2_PKS2_PKT4_PKT5_llS5_PT6_ll16rocsparse_order_21rocsparse_index_base_b,comdat
.Lfunc_end37:
	.size	_ZN9rocsparseL29bsrmmnt_small_blockdim_kernelILj64ELj8ELj2EliddddEEv20rocsparse_direction_T3_S2_llNS_24const_host_device_scalarIT7_EEPKT2_PKS2_PKT4_PKT5_llS5_PT6_ll16rocsparse_order_21rocsparse_index_base_b, .Lfunc_end37-_ZN9rocsparseL29bsrmmnt_small_blockdim_kernelILj64ELj8ELj2EliddddEEv20rocsparse_direction_T3_S2_llNS_24const_host_device_scalarIT7_EEPKT2_PKS2_PKT4_PKT5_llS5_PT6_ll16rocsparse_order_21rocsparse_index_base_b
                                        ; -- End function
	.set _ZN9rocsparseL29bsrmmnt_small_blockdim_kernelILj64ELj8ELj2EliddddEEv20rocsparse_direction_T3_S2_llNS_24const_host_device_scalarIT7_EEPKT2_PKS2_PKT4_PKT5_llS5_PT6_ll16rocsparse_order_21rocsparse_index_base_b.num_vgpr, 45
	.set _ZN9rocsparseL29bsrmmnt_small_blockdim_kernelILj64ELj8ELj2EliddddEEv20rocsparse_direction_T3_S2_llNS_24const_host_device_scalarIT7_EEPKT2_PKS2_PKT4_PKT5_llS5_PT6_ll16rocsparse_order_21rocsparse_index_base_b.num_agpr, 0
	.set _ZN9rocsparseL29bsrmmnt_small_blockdim_kernelILj64ELj8ELj2EliddddEEv20rocsparse_direction_T3_S2_llNS_24const_host_device_scalarIT7_EEPKT2_PKS2_PKT4_PKT5_llS5_PT6_ll16rocsparse_order_21rocsparse_index_base_b.numbered_sgpr, 28
	.set _ZN9rocsparseL29bsrmmnt_small_blockdim_kernelILj64ELj8ELj2EliddddEEv20rocsparse_direction_T3_S2_llNS_24const_host_device_scalarIT7_EEPKT2_PKS2_PKT4_PKT5_llS5_PT6_ll16rocsparse_order_21rocsparse_index_base_b.num_named_barrier, 0
	.set _ZN9rocsparseL29bsrmmnt_small_blockdim_kernelILj64ELj8ELj2EliddddEEv20rocsparse_direction_T3_S2_llNS_24const_host_device_scalarIT7_EEPKT2_PKS2_PKT4_PKT5_llS5_PT6_ll16rocsparse_order_21rocsparse_index_base_b.private_seg_size, 0
	.set _ZN9rocsparseL29bsrmmnt_small_blockdim_kernelILj64ELj8ELj2EliddddEEv20rocsparse_direction_T3_S2_llNS_24const_host_device_scalarIT7_EEPKT2_PKS2_PKT4_PKT5_llS5_PT6_ll16rocsparse_order_21rocsparse_index_base_b.uses_vcc, 1
	.set _ZN9rocsparseL29bsrmmnt_small_blockdim_kernelILj64ELj8ELj2EliddddEEv20rocsparse_direction_T3_S2_llNS_24const_host_device_scalarIT7_EEPKT2_PKS2_PKT4_PKT5_llS5_PT6_ll16rocsparse_order_21rocsparse_index_base_b.uses_flat_scratch, 0
	.set _ZN9rocsparseL29bsrmmnt_small_blockdim_kernelILj64ELj8ELj2EliddddEEv20rocsparse_direction_T3_S2_llNS_24const_host_device_scalarIT7_EEPKT2_PKS2_PKT4_PKT5_llS5_PT6_ll16rocsparse_order_21rocsparse_index_base_b.has_dyn_sized_stack, 0
	.set _ZN9rocsparseL29bsrmmnt_small_blockdim_kernelILj64ELj8ELj2EliddddEEv20rocsparse_direction_T3_S2_llNS_24const_host_device_scalarIT7_EEPKT2_PKS2_PKT4_PKT5_llS5_PT6_ll16rocsparse_order_21rocsparse_index_base_b.has_recursion, 0
	.set _ZN9rocsparseL29bsrmmnt_small_blockdim_kernelILj64ELj8ELj2EliddddEEv20rocsparse_direction_T3_S2_llNS_24const_host_device_scalarIT7_EEPKT2_PKS2_PKT4_PKT5_llS5_PT6_ll16rocsparse_order_21rocsparse_index_base_b.has_indirect_call, 0
	.section	.AMDGPU.csdata,"",@progbits
; Kernel info:
; codeLenInByte = 1480
; TotalNumSgprs: 32
; NumVgprs: 45
; ScratchSize: 0
; MemoryBound: 0
; FloatMode: 240
; IeeeMode: 1
; LDSByteSize: 1792 bytes/workgroup (compile time only)
; SGPRBlocks: 8
; VGPRBlocks: 11
; NumSGPRsForWavesPerEU: 65
; NumVGPRsForWavesPerEU: 45
; Occupancy: 5
; WaveLimiterHint : 1
; COMPUTE_PGM_RSRC2:SCRATCH_EN: 0
; COMPUTE_PGM_RSRC2:USER_SGPR: 6
; COMPUTE_PGM_RSRC2:TRAP_HANDLER: 0
; COMPUTE_PGM_RSRC2:TGID_X_EN: 1
; COMPUTE_PGM_RSRC2:TGID_Y_EN: 0
; COMPUTE_PGM_RSRC2:TGID_Z_EN: 0
; COMPUTE_PGM_RSRC2:TIDIG_COMP_CNT: 0
	.section	.text._ZN9rocsparseL29bsrmmnt_small_blockdim_kernelILj64ELj16ELj2EliddddEEv20rocsparse_direction_T3_S2_llNS_24const_host_device_scalarIT7_EEPKT2_PKS2_PKT4_PKT5_llS5_PT6_ll16rocsparse_order_21rocsparse_index_base_b,"axG",@progbits,_ZN9rocsparseL29bsrmmnt_small_blockdim_kernelILj64ELj16ELj2EliddddEEv20rocsparse_direction_T3_S2_llNS_24const_host_device_scalarIT7_EEPKT2_PKS2_PKT4_PKT5_llS5_PT6_ll16rocsparse_order_21rocsparse_index_base_b,comdat
	.globl	_ZN9rocsparseL29bsrmmnt_small_blockdim_kernelILj64ELj16ELj2EliddddEEv20rocsparse_direction_T3_S2_llNS_24const_host_device_scalarIT7_EEPKT2_PKS2_PKT4_PKT5_llS5_PT6_ll16rocsparse_order_21rocsparse_index_base_b ; -- Begin function _ZN9rocsparseL29bsrmmnt_small_blockdim_kernelILj64ELj16ELj2EliddddEEv20rocsparse_direction_T3_S2_llNS_24const_host_device_scalarIT7_EEPKT2_PKS2_PKT4_PKT5_llS5_PT6_ll16rocsparse_order_21rocsparse_index_base_b
	.p2align	8
	.type	_ZN9rocsparseL29bsrmmnt_small_blockdim_kernelILj64ELj16ELj2EliddddEEv20rocsparse_direction_T3_S2_llNS_24const_host_device_scalarIT7_EEPKT2_PKS2_PKT4_PKT5_llS5_PT6_ll16rocsparse_order_21rocsparse_index_base_b,@function
_ZN9rocsparseL29bsrmmnt_small_blockdim_kernelILj64ELj16ELj2EliddddEEv20rocsparse_direction_T3_S2_llNS_24const_host_device_scalarIT7_EEPKT2_PKS2_PKT4_PKT5_llS5_PT6_ll16rocsparse_order_21rocsparse_index_base_b: ; @_ZN9rocsparseL29bsrmmnt_small_blockdim_kernelILj64ELj16ELj2EliddddEEv20rocsparse_direction_T3_S2_llNS_24const_host_device_scalarIT7_EEPKT2_PKS2_PKT4_PKT5_llS5_PT6_ll16rocsparse_order_21rocsparse_index_base_b
; %bb.0:
	s_load_dwordx4 s[16:19], s[4:5], 0x78
	s_load_dwordx2 s[8:9], s[4:5], 0x20
	s_load_dwordx2 s[0:1], s[4:5], 0x58
	s_waitcnt lgkmcnt(0)
	s_bitcmp1_b32 s18, 0
	s_cselect_b64 s[10:11], -1, 0
	v_mov_b32_e32 v1, s8
	s_xor_b64 s[2:3], s[10:11], -1
	s_and_b64 vcc, exec, s[10:11]
	v_mov_b32_e32 v2, s9
	s_cbranch_vccnz .LBB38_2
; %bb.1:
	v_mov_b32_e32 v1, s8
	v_mov_b32_e32 v2, s9
	flat_load_dwordx2 v[1:2], v[1:2]
.LBB38_2:
	v_mov_b32_e32 v4, s1
	s_andn2_b64 vcc, exec, s[2:3]
	v_mov_b32_e32 v3, s0
	s_cbranch_vccnz .LBB38_4
; %bb.3:
	v_mov_b32_e32 v4, s1
	v_mov_b32_e32 v3, s0
	flat_load_dwordx2 v[3:4], v[3:4]
.LBB38_4:
	s_waitcnt vmcnt(0) lgkmcnt(0)
	v_cmp_neq_f64_e32 vcc, 0, v[1:2]
	v_cmp_neq_f64_e64 s[0:1], 1.0, v[3:4]
	s_or_b64 s[0:1], vcc, s[0:1]
	s_and_saveexec_b64 s[2:3], s[0:1]
	s_cbranch_execz .LBB38_29
; %bb.5:
	s_load_dword s0, s[4:5], 0x94
	s_load_dwordx4 s[20:23], s[4:5], 0x0
	s_waitcnt lgkmcnt(0)
	s_and_b32 s0, s0, 0xffff
	s_mul_i32 s6, s6, s0
	v_add_u32_e32 v5, s6, v0
	v_lshrrev_b32_e32 v6, 5, v5
	v_cmp_gt_i32_e32 vcc, s21, v6
	s_and_b64 exec, exec, vcc
	s_cbranch_execz .LBB38_29
; %bb.6:
	s_cmp_lt_i32 s22, 1
	s_cbranch_scc1 .LBB38_29
; %bb.7:
	s_load_dwordx8 s[8:15], s[4:5], 0x28
	v_lshlrev_b32_e32 v6, 3, v6
	s_cmp_lg_u32 s16, 1
	v_and_b32_e32 v21, 15, v0
	v_lshrrev_b32_e32 v7, 4, v5
	s_waitcnt lgkmcnt(0)
	global_load_dwordx4 v[9:12], v6, s[8:9]
	s_load_dwordx4 s[24:27], s[4:5], 0x60
	s_load_dwordx2 s[6:7], s[4:5], 0x48
	s_cselect_b64 s[8:9], -1, 0
	s_cmp_eq_u32 s20, 0
	v_lshrrev_b32_e32 v6, 4, v0
	v_mov_b32_e32 v0, 0x600
	s_cselect_b64 s[2:3], -1, 0
	v_bfe_u32 v5, v5, 4, 1
	v_lshl_or_b32 v0, v6, 6, v0
	v_mul_u32_u24_e32 v22, 0x180, v6
	v_cndmask_b32_e64 v6, 0, 1, s[2:3]
	v_lshlrev_b32_e32 v5, v6, v5
	s_and_b64 s[2:3], s[2:3], exec
	v_lshlrev_b32_e32 v14, 3, v5
	s_waitcnt lgkmcnt(0)
	v_mad_u64_u32 v[5:6], s[2:3], s26, v7, 0
	v_lshlrev_b32_e32 v8, 3, v7
	v_mov_b32_e32 v16, s25
	v_mad_u64_u32 v[6:7], s[2:3], s27, v7, v[6:7]
	v_add_co_u32_e32 v24, vcc, s24, v8
	v_addc_co_u32_e32 v25, vcc, 0, v16, vcc
	v_cmp_neq_f64_e64 s[0:1], 0, v[3:4]
	v_mov_b32_e32 v17, s13
	v_add_co_u32_e32 v26, vcc, s12, v14
	v_lshlrev_b64 v[5:6], 3, v[5:6]
	v_addc_co_u32_e32 v27, vcc, 0, v17, vcc
	v_mov_b32_e32 v15, s25
	v_add_co_u32_e32 v28, vcc, s24, v5
	v_addc_co_u32_e32 v29, vcc, v15, v6, vcc
	v_mul_u32_u24_e32 v13, 24, v21
	s_mov_b32 s23, 0
	v_lshl_or_b32 v23, v21, 2, v0
	s_cselect_b32 s16, 8, 16
	v_add_u32_e32 v30, v22, v13
	s_waitcnt vmcnt(0)
	v_subrev_co_u32_e32 v5, vcc, s17, v9
	v_subbrev_co_u32_e32 v6, vcc, 0, v10, vcc
	v_subrev_co_u32_e32 v7, vcc, s17, v11
	v_cmp_lt_i64_e64 s[2:3], v[9:10], v[11:12]
	v_subbrev_co_u32_e32 v8, vcc, 0, v12, vcc
	s_branch .LBB38_9
.LBB38_8:                               ;   in Loop: Header=BB38_9 Depth=1
	s_or_b64 exec, exec, s[4:5]
	s_add_i32 s23, s23, 16
	s_cmp_lt_i32 s23, s22
	s_cbranch_scc0 .LBB38_29
.LBB38_9:                               ; =>This Loop Header: Depth=1
                                        ;     Child Loop BB38_12 Depth 2
                                        ;       Child Loop BB38_16 Depth 3
	v_or_b32_e32 v9, s23, v21
	v_mov_b32_e32 v11, 0
	v_mov_b32_e32 v12, 0
	v_ashrrev_i32_e32 v10, 31, v9
	s_and_saveexec_b64 s[12:13], s[2:3]
	s_cbranch_execz .LBB38_18
; %bb.10:                               ;   in Loop: Header=BB38_9 Depth=1
	v_lshlrev_b64 v[11:12], 3, v[9:10]
	v_mov_b32_e32 v13, s15
	v_add_co_u32_e64 v31, s[4:5], s14, v11
	v_addc_co_u32_e64 v32, s[4:5], v13, v12, s[4:5]
	v_mov_b32_e32 v11, 0
	v_mov_b32_e32 v14, v6
	v_cmp_gt_i32_e32 vcc, s22, v9
	v_mov_b32_e32 v12, 0
	s_mov_b64 s[18:19], 0
	v_mov_b32_e32 v13, v5
	s_branch .LBB38_12
.LBB38_11:                              ;   in Loop: Header=BB38_12 Depth=2
	s_or_b64 exec, exec, s[20:21]
	v_add_co_u32_e64 v13, s[4:5], 16, v13
	v_addc_co_u32_e64 v14, s[4:5], 0, v14, s[4:5]
	v_cmp_ge_i64_e64 s[4:5], v[13:14], v[7:8]
	s_or_b64 s[18:19], s[4:5], s[18:19]
	s_andn2_b64 exec, exec, s[18:19]
	s_cbranch_execz .LBB38_17
.LBB38_12:                              ;   Parent Loop BB38_9 Depth=1
                                        ; =>  This Loop Header: Depth=2
                                        ;       Child Loop BB38_16 Depth 3
	v_add_co_u32_e64 v17, s[4:5], v13, v21
	v_addc_co_u32_e64 v18, s[4:5], 0, v14, s[4:5]
	v_cmp_lt_i64_e64 s[4:5], v[17:18], v[7:8]
	v_mov_b32_e32 v15, 0
	v_mov_b32_e32 v19, 0
	;; [unrolled: 1-line block ×5, first 2 shown]
	s_and_saveexec_b64 s[20:21], s[4:5]
	s_cbranch_execz .LBB38_14
; %bb.13:                               ;   in Loop: Header=BB38_12 Depth=2
	v_lshlrev_b64 v[15:16], 2, v[17:18]
	v_mov_b32_e32 v19, s11
	v_add_co_u32_e64 v15, s[4:5], s10, v15
	v_addc_co_u32_e64 v16, s[4:5], v19, v16, s[4:5]
	global_load_dword v35, v[15:16], off
	v_lshlrev_b64 v[15:16], 5, v[17:18]
	v_add_co_u32_e64 v17, s[4:5], v26, v15
	v_addc_co_u32_e64 v18, s[4:5], v27, v16, s[4:5]
	v_add_co_u32_e64 v33, s[4:5], s16, v17
	v_addc_co_u32_e64 v34, s[4:5], 0, v18, s[4:5]
	global_load_dwordx2 v[15:16], v[17:18], off
	global_load_dwordx2 v[19:20], v[33:34], off
	s_waitcnt vmcnt(2)
	v_subrev_u32_e32 v17, s17, v35
	v_lshlrev_b32_e32 v33, 1, v17
.LBB38_14:                              ;   in Loop: Header=BB38_12 Depth=2
	s_or_b64 exec, exec, s[20:21]
	ds_write_b32 v23, v33
	s_waitcnt vmcnt(0)
	ds_write2_b64 v30, v[15:16], v[19:20] offset1:1
	s_waitcnt lgkmcnt(0)
	; wave barrier
	s_and_saveexec_b64 s[20:21], vcc
	s_cbranch_execz .LBB38_11
; %bb.15:                               ;   in Loop: Header=BB38_12 Depth=2
	s_mov_b32 s24, 0
	v_mov_b32_e32 v15, v22
.LBB38_16:                              ;   Parent Loop BB38_9 Depth=1
                                        ;     Parent Loop BB38_12 Depth=2
                                        ; =>    This Inner Loop Header: Depth=3
	v_add_u32_e32 v16, s24, v0
	ds_read_b64 v[16:17], v16
	s_add_i32 s24, s24, 8
	s_cmp_lg_u32 s24, 64
	s_waitcnt lgkmcnt(0)
	v_ashrrev_i32_e32 v20, 31, v16
	v_mul_lo_u32 v35, s7, v16
	v_mad_u64_u32 v[18:19], s[4:5], s6, v16, 0
	v_mul_lo_u32 v20, s6, v20
	v_add_u32_e32 v16, 1, v16
	v_ashrrev_i32_e32 v36, 31, v17
	v_mul_lo_u32 v41, s7, v17
	v_add3_u32 v19, v19, v20, v35
	v_lshlrev_b64 v[18:19], 3, v[18:19]
	v_mad_u64_u32 v[33:34], s[4:5], s6, v17, 0
	v_add_u32_e32 v39, 1, v17
	v_ashrrev_i32_e32 v37, 31, v16
	v_mul_lo_u32 v40, s7, v16
	v_mad_u64_u32 v[16:17], s[4:5], s6, v16, 0
	v_add_co_u32_e64 v18, s[4:5], v31, v18
	v_mul_lo_u32 v44, s6, v37
	v_addc_co_u32_e64 v19, s[4:5], v32, v19, s[4:5]
	global_load_dwordx2 v[37:38], v[18:19], off
	v_add3_u32 v17, v17, v44, v40
	v_lshlrev_b64 v[16:17], 3, v[16:17]
	v_mad_u64_u32 v[18:19], s[4:5], s6, v39, 0
	v_add_co_u32_e64 v16, s[4:5], v31, v16
	v_mul_lo_u32 v36, s6, v36
	v_addc_co_u32_e64 v17, s[4:5], v32, v17, s[4:5]
	v_ashrrev_i32_e32 v42, 31, v39
	v_mul_lo_u32 v43, s7, v39
	global_load_dwordx2 v[39:40], v[16:17], off
	v_add3_u32 v34, v34, v36, v41
	v_lshlrev_b64 v[16:17], 3, v[33:34]
	v_mul_lo_u32 v20, s6, v42
	v_add_co_u32_e64 v16, s[4:5], v31, v16
	v_addc_co_u32_e64 v17, s[4:5], v32, v17, s[4:5]
	global_load_dwordx2 v[41:42], v[16:17], off
	v_add3_u32 v19, v19, v20, v43
	v_lshlrev_b64 v[16:17], 3, v[18:19]
	v_add_co_u32_e64 v16, s[4:5], v31, v16
	v_addc_co_u32_e64 v17, s[4:5], v32, v17, s[4:5]
	global_load_dwordx2 v[43:44], v[16:17], off
	ds_read_b128 v[16:19], v15
	ds_read2_b64 v[33:36], v15 offset0:3 offset1:4
	v_add_u32_e32 v15, 48, v15
	s_waitcnt vmcnt(3) lgkmcnt(1)
	v_fma_f64 v[11:12], v[16:17], v[37:38], v[11:12]
	s_waitcnt vmcnt(2)
	v_fma_f64 v[11:12], v[18:19], v[39:40], v[11:12]
	s_waitcnt vmcnt(1) lgkmcnt(0)
	v_fma_f64 v[11:12], v[33:34], v[41:42], v[11:12]
	s_waitcnt vmcnt(0)
	v_fma_f64 v[11:12], v[35:36], v[43:44], v[11:12]
	s_cbranch_scc1 .LBB38_16
	s_branch .LBB38_11
.LBB38_17:                              ;   in Loop: Header=BB38_9 Depth=1
	s_or_b64 exec, exec, s[18:19]
.LBB38_18:                              ;   in Loop: Header=BB38_9 Depth=1
	s_or_b64 exec, exec, s[12:13]
	v_cmp_gt_i32_e32 vcc, s22, v9
	s_and_saveexec_b64 s[4:5], vcc
	s_cbranch_execz .LBB38_8
; %bb.19:                               ;   in Loop: Header=BB38_9 Depth=1
	s_and_saveexec_b64 s[12:13], s[0:1]
	s_xor_b64 s[12:13], exec, s[12:13]
	s_cbranch_execz .LBB38_24
; %bb.20:                               ;   in Loop: Header=BB38_9 Depth=1
	s_mov_b64 s[18:19], -1
	s_and_b64 vcc, exec, s[8:9]
	s_cbranch_vccz .LBB38_22
; %bb.21:                               ;   in Loop: Header=BB38_9 Depth=1
	v_lshlrev_b64 v[13:14], 3, v[9:10]
	v_mul_f64 v[17:18], v[1:2], v[11:12]
	v_add_co_u32_e32 v13, vcc, v28, v13
	v_addc_co_u32_e32 v14, vcc, v29, v14, vcc
	global_load_dwordx2 v[15:16], v[13:14], off
	s_mov_b64 s[18:19], 0
	s_waitcnt vmcnt(0)
	v_fma_f64 v[15:16], v[3:4], v[15:16], v[17:18]
	global_store_dwordx2 v[13:14], v[15:16], off
.LBB38_22:                              ;   in Loop: Header=BB38_9 Depth=1
	s_andn2_b64 vcc, exec, s[18:19]
	s_cbranch_vccnz .LBB38_24
; %bb.23:                               ;   in Loop: Header=BB38_9 Depth=1
	v_mul_lo_u32 v13, s27, v9
	v_mul_lo_u32 v14, s26, v10
	v_mad_u64_u32 v[9:10], s[18:19], s26, v9, 0
	v_mul_f64 v[11:12], v[1:2], v[11:12]
	v_add3_u32 v10, v10, v14, v13
	v_lshlrev_b64 v[9:10], 3, v[9:10]
	v_add_co_u32_e32 v9, vcc, v24, v9
	v_addc_co_u32_e32 v10, vcc, v25, v10, vcc
	global_load_dwordx2 v[13:14], v[9:10], off
	s_waitcnt vmcnt(0)
	v_fma_f64 v[11:12], v[3:4], v[13:14], v[11:12]
	global_store_dwordx2 v[9:10], v[11:12], off
                                        ; implicit-def: $vgpr11_vgpr12
                                        ; implicit-def: $vgpr9
.LBB38_24:                              ;   in Loop: Header=BB38_9 Depth=1
	s_andn2_saveexec_b64 s[12:13], s[12:13]
	s_cbranch_execz .LBB38_8
; %bb.25:                               ;   in Loop: Header=BB38_9 Depth=1
	v_mul_f64 v[11:12], v[1:2], v[11:12]
	s_mov_b64 s[12:13], -1
	s_and_b64 vcc, exec, s[8:9]
	s_cbranch_vccz .LBB38_27
; %bb.26:                               ;   in Loop: Header=BB38_9 Depth=1
	v_lshlrev_b64 v[13:14], 3, v[9:10]
	s_mov_b64 s[12:13], 0
	v_add_co_u32_e32 v13, vcc, v28, v13
	v_addc_co_u32_e32 v14, vcc, v29, v14, vcc
	global_store_dwordx2 v[13:14], v[11:12], off
.LBB38_27:                              ;   in Loop: Header=BB38_9 Depth=1
	s_andn2_b64 vcc, exec, s[12:13]
	s_cbranch_vccnz .LBB38_8
; %bb.28:                               ;   in Loop: Header=BB38_9 Depth=1
	v_mul_lo_u32 v13, s27, v9
	v_mul_lo_u32 v14, s26, v10
	v_mad_u64_u32 v[9:10], s[12:13], s26, v9, 0
	v_add3_u32 v10, v10, v14, v13
	v_lshlrev_b64 v[9:10], 3, v[9:10]
	v_add_co_u32_e32 v9, vcc, v24, v9
	v_addc_co_u32_e32 v10, vcc, v25, v10, vcc
	global_store_dwordx2 v[9:10], v[11:12], off
	s_branch .LBB38_8
.LBB38_29:
	s_endpgm
	.section	.rodata,"a",@progbits
	.p2align	6, 0x0
	.amdhsa_kernel _ZN9rocsparseL29bsrmmnt_small_blockdim_kernelILj64ELj16ELj2EliddddEEv20rocsparse_direction_T3_S2_llNS_24const_host_device_scalarIT7_EEPKT2_PKS2_PKT4_PKT5_llS5_PT6_ll16rocsparse_order_21rocsparse_index_base_b
		.amdhsa_group_segment_fixed_size 1792
		.amdhsa_private_segment_fixed_size 0
		.amdhsa_kernarg_size 392
		.amdhsa_user_sgpr_count 6
		.amdhsa_user_sgpr_private_segment_buffer 1
		.amdhsa_user_sgpr_dispatch_ptr 0
		.amdhsa_user_sgpr_queue_ptr 0
		.amdhsa_user_sgpr_kernarg_segment_ptr 1
		.amdhsa_user_sgpr_dispatch_id 0
		.amdhsa_user_sgpr_flat_scratch_init 0
		.amdhsa_user_sgpr_private_segment_size 0
		.amdhsa_uses_dynamic_stack 0
		.amdhsa_system_sgpr_private_segment_wavefront_offset 0
		.amdhsa_system_sgpr_workgroup_id_x 1
		.amdhsa_system_sgpr_workgroup_id_y 0
		.amdhsa_system_sgpr_workgroup_id_z 0
		.amdhsa_system_sgpr_workgroup_info 0
		.amdhsa_system_vgpr_workitem_id 0
		.amdhsa_next_free_vgpr 45
		.amdhsa_next_free_sgpr 61
		.amdhsa_reserve_vcc 1
		.amdhsa_reserve_flat_scratch 0
		.amdhsa_float_round_mode_32 0
		.amdhsa_float_round_mode_16_64 0
		.amdhsa_float_denorm_mode_32 3
		.amdhsa_float_denorm_mode_16_64 3
		.amdhsa_dx10_clamp 1
		.amdhsa_ieee_mode 1
		.amdhsa_fp16_overflow 0
		.amdhsa_exception_fp_ieee_invalid_op 0
		.amdhsa_exception_fp_denorm_src 0
		.amdhsa_exception_fp_ieee_div_zero 0
		.amdhsa_exception_fp_ieee_overflow 0
		.amdhsa_exception_fp_ieee_underflow 0
		.amdhsa_exception_fp_ieee_inexact 0
		.amdhsa_exception_int_div_zero 0
	.end_amdhsa_kernel
	.section	.text._ZN9rocsparseL29bsrmmnt_small_blockdim_kernelILj64ELj16ELj2EliddddEEv20rocsparse_direction_T3_S2_llNS_24const_host_device_scalarIT7_EEPKT2_PKS2_PKT4_PKT5_llS5_PT6_ll16rocsparse_order_21rocsparse_index_base_b,"axG",@progbits,_ZN9rocsparseL29bsrmmnt_small_blockdim_kernelILj64ELj16ELj2EliddddEEv20rocsparse_direction_T3_S2_llNS_24const_host_device_scalarIT7_EEPKT2_PKS2_PKT4_PKT5_llS5_PT6_ll16rocsparse_order_21rocsparse_index_base_b,comdat
.Lfunc_end38:
	.size	_ZN9rocsparseL29bsrmmnt_small_blockdim_kernelILj64ELj16ELj2EliddddEEv20rocsparse_direction_T3_S2_llNS_24const_host_device_scalarIT7_EEPKT2_PKS2_PKT4_PKT5_llS5_PT6_ll16rocsparse_order_21rocsparse_index_base_b, .Lfunc_end38-_ZN9rocsparseL29bsrmmnt_small_blockdim_kernelILj64ELj16ELj2EliddddEEv20rocsparse_direction_T3_S2_llNS_24const_host_device_scalarIT7_EEPKT2_PKS2_PKT4_PKT5_llS5_PT6_ll16rocsparse_order_21rocsparse_index_base_b
                                        ; -- End function
	.set _ZN9rocsparseL29bsrmmnt_small_blockdim_kernelILj64ELj16ELj2EliddddEEv20rocsparse_direction_T3_S2_llNS_24const_host_device_scalarIT7_EEPKT2_PKS2_PKT4_PKT5_llS5_PT6_ll16rocsparse_order_21rocsparse_index_base_b.num_vgpr, 45
	.set _ZN9rocsparseL29bsrmmnt_small_blockdim_kernelILj64ELj16ELj2EliddddEEv20rocsparse_direction_T3_S2_llNS_24const_host_device_scalarIT7_EEPKT2_PKS2_PKT4_PKT5_llS5_PT6_ll16rocsparse_order_21rocsparse_index_base_b.num_agpr, 0
	.set _ZN9rocsparseL29bsrmmnt_small_blockdim_kernelILj64ELj16ELj2EliddddEEv20rocsparse_direction_T3_S2_llNS_24const_host_device_scalarIT7_EEPKT2_PKS2_PKT4_PKT5_llS5_PT6_ll16rocsparse_order_21rocsparse_index_base_b.numbered_sgpr, 28
	.set _ZN9rocsparseL29bsrmmnt_small_blockdim_kernelILj64ELj16ELj2EliddddEEv20rocsparse_direction_T3_S2_llNS_24const_host_device_scalarIT7_EEPKT2_PKS2_PKT4_PKT5_llS5_PT6_ll16rocsparse_order_21rocsparse_index_base_b.num_named_barrier, 0
	.set _ZN9rocsparseL29bsrmmnt_small_blockdim_kernelILj64ELj16ELj2EliddddEEv20rocsparse_direction_T3_S2_llNS_24const_host_device_scalarIT7_EEPKT2_PKS2_PKT4_PKT5_llS5_PT6_ll16rocsparse_order_21rocsparse_index_base_b.private_seg_size, 0
	.set _ZN9rocsparseL29bsrmmnt_small_blockdim_kernelILj64ELj16ELj2EliddddEEv20rocsparse_direction_T3_S2_llNS_24const_host_device_scalarIT7_EEPKT2_PKS2_PKT4_PKT5_llS5_PT6_ll16rocsparse_order_21rocsparse_index_base_b.uses_vcc, 1
	.set _ZN9rocsparseL29bsrmmnt_small_blockdim_kernelILj64ELj16ELj2EliddddEEv20rocsparse_direction_T3_S2_llNS_24const_host_device_scalarIT7_EEPKT2_PKS2_PKT4_PKT5_llS5_PT6_ll16rocsparse_order_21rocsparse_index_base_b.uses_flat_scratch, 0
	.set _ZN9rocsparseL29bsrmmnt_small_blockdim_kernelILj64ELj16ELj2EliddddEEv20rocsparse_direction_T3_S2_llNS_24const_host_device_scalarIT7_EEPKT2_PKS2_PKT4_PKT5_llS5_PT6_ll16rocsparse_order_21rocsparse_index_base_b.has_dyn_sized_stack, 0
	.set _ZN9rocsparseL29bsrmmnt_small_blockdim_kernelILj64ELj16ELj2EliddddEEv20rocsparse_direction_T3_S2_llNS_24const_host_device_scalarIT7_EEPKT2_PKS2_PKT4_PKT5_llS5_PT6_ll16rocsparse_order_21rocsparse_index_base_b.has_recursion, 0
	.set _ZN9rocsparseL29bsrmmnt_small_blockdim_kernelILj64ELj16ELj2EliddddEEv20rocsparse_direction_T3_S2_llNS_24const_host_device_scalarIT7_EEPKT2_PKS2_PKT4_PKT5_llS5_PT6_ll16rocsparse_order_21rocsparse_index_base_b.has_indirect_call, 0
	.section	.AMDGPU.csdata,"",@progbits
; Kernel info:
; codeLenInByte = 1480
; TotalNumSgprs: 32
; NumVgprs: 45
; ScratchSize: 0
; MemoryBound: 0
; FloatMode: 240
; IeeeMode: 1
; LDSByteSize: 1792 bytes/workgroup (compile time only)
; SGPRBlocks: 8
; VGPRBlocks: 11
; NumSGPRsForWavesPerEU: 65
; NumVGPRsForWavesPerEU: 45
; Occupancy: 5
; WaveLimiterHint : 1
; COMPUTE_PGM_RSRC2:SCRATCH_EN: 0
; COMPUTE_PGM_RSRC2:USER_SGPR: 6
; COMPUTE_PGM_RSRC2:TRAP_HANDLER: 0
; COMPUTE_PGM_RSRC2:TGID_X_EN: 1
; COMPUTE_PGM_RSRC2:TGID_Y_EN: 0
; COMPUTE_PGM_RSRC2:TGID_Z_EN: 0
; COMPUTE_PGM_RSRC2:TIDIG_COMP_CNT: 0
	.section	.text._ZN9rocsparseL29bsrmmnt_small_blockdim_kernelILj64ELj32ELj2EliddddEEv20rocsparse_direction_T3_S2_llNS_24const_host_device_scalarIT7_EEPKT2_PKS2_PKT4_PKT5_llS5_PT6_ll16rocsparse_order_21rocsparse_index_base_b,"axG",@progbits,_ZN9rocsparseL29bsrmmnt_small_blockdim_kernelILj64ELj32ELj2EliddddEEv20rocsparse_direction_T3_S2_llNS_24const_host_device_scalarIT7_EEPKT2_PKS2_PKT4_PKT5_llS5_PT6_ll16rocsparse_order_21rocsparse_index_base_b,comdat
	.globl	_ZN9rocsparseL29bsrmmnt_small_blockdim_kernelILj64ELj32ELj2EliddddEEv20rocsparse_direction_T3_S2_llNS_24const_host_device_scalarIT7_EEPKT2_PKS2_PKT4_PKT5_llS5_PT6_ll16rocsparse_order_21rocsparse_index_base_b ; -- Begin function _ZN9rocsparseL29bsrmmnt_small_blockdim_kernelILj64ELj32ELj2EliddddEEv20rocsparse_direction_T3_S2_llNS_24const_host_device_scalarIT7_EEPKT2_PKS2_PKT4_PKT5_llS5_PT6_ll16rocsparse_order_21rocsparse_index_base_b
	.p2align	8
	.type	_ZN9rocsparseL29bsrmmnt_small_blockdim_kernelILj64ELj32ELj2EliddddEEv20rocsparse_direction_T3_S2_llNS_24const_host_device_scalarIT7_EEPKT2_PKS2_PKT4_PKT5_llS5_PT6_ll16rocsparse_order_21rocsparse_index_base_b,@function
_ZN9rocsparseL29bsrmmnt_small_blockdim_kernelILj64ELj32ELj2EliddddEEv20rocsparse_direction_T3_S2_llNS_24const_host_device_scalarIT7_EEPKT2_PKS2_PKT4_PKT5_llS5_PT6_ll16rocsparse_order_21rocsparse_index_base_b: ; @_ZN9rocsparseL29bsrmmnt_small_blockdim_kernelILj64ELj32ELj2EliddddEEv20rocsparse_direction_T3_S2_llNS_24const_host_device_scalarIT7_EEPKT2_PKS2_PKT4_PKT5_llS5_PT6_ll16rocsparse_order_21rocsparse_index_base_b
; %bb.0:
	s_load_dwordx4 s[16:19], s[4:5], 0x78
	s_load_dwordx2 s[8:9], s[4:5], 0x20
	s_load_dwordx2 s[0:1], s[4:5], 0x58
	s_waitcnt lgkmcnt(0)
	s_bitcmp1_b32 s18, 0
	s_cselect_b64 s[10:11], -1, 0
	v_mov_b32_e32 v1, s8
	s_xor_b64 s[2:3], s[10:11], -1
	s_and_b64 vcc, exec, s[10:11]
	v_mov_b32_e32 v2, s9
	s_cbranch_vccnz .LBB39_2
; %bb.1:
	v_mov_b32_e32 v1, s8
	v_mov_b32_e32 v2, s9
	flat_load_dwordx2 v[1:2], v[1:2]
.LBB39_2:
	v_mov_b32_e32 v4, s1
	s_andn2_b64 vcc, exec, s[2:3]
	v_mov_b32_e32 v3, s0
	s_cbranch_vccnz .LBB39_4
; %bb.3:
	v_mov_b32_e32 v4, s1
	v_mov_b32_e32 v3, s0
	flat_load_dwordx2 v[3:4], v[3:4]
.LBB39_4:
	s_waitcnt vmcnt(0) lgkmcnt(0)
	v_cmp_neq_f64_e32 vcc, 0, v[1:2]
	v_cmp_neq_f64_e64 s[0:1], 1.0, v[3:4]
	s_or_b64 s[0:1], vcc, s[0:1]
	s_and_saveexec_b64 s[2:3], s[0:1]
	s_cbranch_execz .LBB39_29
; %bb.5:
	s_load_dword s0, s[4:5], 0x94
	s_load_dwordx4 s[20:23], s[4:5], 0x0
	s_waitcnt lgkmcnt(0)
	s_and_b32 s0, s0, 0xffff
	s_mul_i32 s6, s6, s0
	v_add_u32_e32 v5, s6, v0
	v_lshrrev_b32_e32 v6, 6, v5
	v_cmp_gt_i32_e32 vcc, s21, v6
	s_and_b64 exec, exec, vcc
	s_cbranch_execz .LBB39_29
; %bb.6:
	s_cmp_lt_i32 s22, 1
	s_cbranch_scc1 .LBB39_29
; %bb.7:
	s_load_dwordx8 s[8:15], s[4:5], 0x28
	v_lshlrev_b32_e32 v6, 3, v6
	s_cmp_lg_u32 s16, 1
	v_and_b32_e32 v21, 31, v0
	v_lshrrev_b32_e32 v7, 5, v5
	s_waitcnt lgkmcnt(0)
	global_load_dwordx4 v[9:12], v6, s[8:9]
	s_load_dwordx4 s[24:27], s[4:5], 0x60
	s_load_dwordx2 s[6:7], s[4:5], 0x48
	s_cselect_b64 s[8:9], -1, 0
	s_cmp_eq_u32 s20, 0
	v_lshrrev_b32_e32 v6, 5, v0
	v_mov_b32_e32 v0, 0x600
	s_cselect_b64 s[2:3], -1, 0
	v_bfe_u32 v5, v5, 5, 1
	v_lshl_or_b32 v0, v6, 7, v0
	v_mul_u32_u24_e32 v22, 0x300, v6
	v_cndmask_b32_e64 v6, 0, 1, s[2:3]
	v_lshlrev_b32_e32 v5, v6, v5
	s_and_b64 s[2:3], s[2:3], exec
	v_lshlrev_b32_e32 v14, 3, v5
	s_waitcnt lgkmcnt(0)
	v_mad_u64_u32 v[5:6], s[2:3], s26, v7, 0
	v_lshlrev_b32_e32 v8, 3, v7
	v_mov_b32_e32 v16, s25
	v_mad_u64_u32 v[6:7], s[2:3], s27, v7, v[6:7]
	v_add_co_u32_e32 v24, vcc, s24, v8
	v_addc_co_u32_e32 v25, vcc, 0, v16, vcc
	v_cmp_neq_f64_e64 s[0:1], 0, v[3:4]
	v_mov_b32_e32 v17, s13
	v_add_co_u32_e32 v26, vcc, s12, v14
	v_lshlrev_b64 v[5:6], 3, v[5:6]
	v_addc_co_u32_e32 v27, vcc, 0, v17, vcc
	v_mov_b32_e32 v15, s25
	v_add_co_u32_e32 v28, vcc, s24, v5
	v_addc_co_u32_e32 v29, vcc, v15, v6, vcc
	v_mul_u32_u24_e32 v13, 24, v21
	s_mov_b32 s23, 0
	v_lshl_or_b32 v23, v21, 2, v0
	s_cselect_b32 s16, 8, 16
	v_add_u32_e32 v30, v22, v13
	s_waitcnt vmcnt(0)
	v_subrev_co_u32_e32 v5, vcc, s17, v9
	v_subbrev_co_u32_e32 v6, vcc, 0, v10, vcc
	v_subrev_co_u32_e32 v7, vcc, s17, v11
	v_cmp_lt_i64_e64 s[2:3], v[9:10], v[11:12]
	v_subbrev_co_u32_e32 v8, vcc, 0, v12, vcc
	s_branch .LBB39_9
.LBB39_8:                               ;   in Loop: Header=BB39_9 Depth=1
	s_or_b64 exec, exec, s[4:5]
	s_add_i32 s23, s23, 32
	s_cmp_lt_i32 s23, s22
	s_cbranch_scc0 .LBB39_29
.LBB39_9:                               ; =>This Loop Header: Depth=1
                                        ;     Child Loop BB39_12 Depth 2
                                        ;       Child Loop BB39_16 Depth 3
	v_or_b32_e32 v9, s23, v21
	v_mov_b32_e32 v11, 0
	v_mov_b32_e32 v12, 0
	v_ashrrev_i32_e32 v10, 31, v9
	s_and_saveexec_b64 s[12:13], s[2:3]
	s_cbranch_execz .LBB39_18
; %bb.10:                               ;   in Loop: Header=BB39_9 Depth=1
	v_lshlrev_b64 v[11:12], 3, v[9:10]
	v_mov_b32_e32 v13, s15
	v_add_co_u32_e64 v31, s[4:5], s14, v11
	v_addc_co_u32_e64 v32, s[4:5], v13, v12, s[4:5]
	v_mov_b32_e32 v11, 0
	v_mov_b32_e32 v14, v6
	v_cmp_gt_i32_e32 vcc, s22, v9
	v_mov_b32_e32 v12, 0
	s_mov_b64 s[18:19], 0
	v_mov_b32_e32 v13, v5
	s_branch .LBB39_12
.LBB39_11:                              ;   in Loop: Header=BB39_12 Depth=2
	s_or_b64 exec, exec, s[20:21]
	v_add_co_u32_e64 v13, s[4:5], 32, v13
	v_addc_co_u32_e64 v14, s[4:5], 0, v14, s[4:5]
	v_cmp_ge_i64_e64 s[4:5], v[13:14], v[7:8]
	s_or_b64 s[18:19], s[4:5], s[18:19]
	s_andn2_b64 exec, exec, s[18:19]
	s_cbranch_execz .LBB39_17
.LBB39_12:                              ;   Parent Loop BB39_9 Depth=1
                                        ; =>  This Loop Header: Depth=2
                                        ;       Child Loop BB39_16 Depth 3
	v_add_co_u32_e64 v17, s[4:5], v13, v21
	v_addc_co_u32_e64 v18, s[4:5], 0, v14, s[4:5]
	v_cmp_lt_i64_e64 s[4:5], v[17:18], v[7:8]
	v_mov_b32_e32 v15, 0
	v_mov_b32_e32 v19, 0
	v_mov_b32_e32 v16, 0
	v_mov_b32_e32 v20, 0
	v_mov_b32_e32 v33, 0
	s_and_saveexec_b64 s[20:21], s[4:5]
	s_cbranch_execz .LBB39_14
; %bb.13:                               ;   in Loop: Header=BB39_12 Depth=2
	v_lshlrev_b64 v[15:16], 2, v[17:18]
	v_mov_b32_e32 v19, s11
	v_add_co_u32_e64 v15, s[4:5], s10, v15
	v_addc_co_u32_e64 v16, s[4:5], v19, v16, s[4:5]
	global_load_dword v35, v[15:16], off
	v_lshlrev_b64 v[15:16], 5, v[17:18]
	v_add_co_u32_e64 v17, s[4:5], v26, v15
	v_addc_co_u32_e64 v18, s[4:5], v27, v16, s[4:5]
	v_add_co_u32_e64 v33, s[4:5], s16, v17
	v_addc_co_u32_e64 v34, s[4:5], 0, v18, s[4:5]
	global_load_dwordx2 v[15:16], v[17:18], off
	global_load_dwordx2 v[19:20], v[33:34], off
	s_waitcnt vmcnt(2)
	v_subrev_u32_e32 v17, s17, v35
	v_lshlrev_b32_e32 v33, 1, v17
.LBB39_14:                              ;   in Loop: Header=BB39_12 Depth=2
	s_or_b64 exec, exec, s[20:21]
	ds_write_b32 v23, v33
	s_waitcnt vmcnt(0)
	ds_write2_b64 v30, v[15:16], v[19:20] offset1:1
	s_waitcnt lgkmcnt(0)
	; wave barrier
	s_and_saveexec_b64 s[20:21], vcc
	s_cbranch_execz .LBB39_11
; %bb.15:                               ;   in Loop: Header=BB39_12 Depth=2
	s_mov_b32 s24, 0
	v_mov_b32_e32 v15, v22
.LBB39_16:                              ;   Parent Loop BB39_9 Depth=1
                                        ;     Parent Loop BB39_12 Depth=2
                                        ; =>    This Inner Loop Header: Depth=3
	v_add_u32_e32 v16, s24, v0
	ds_read_b64 v[16:17], v16
	s_add_i32 s24, s24, 8
	s_cmpk_lg_i32 s24, 0x80
	s_waitcnt lgkmcnt(0)
	v_ashrrev_i32_e32 v20, 31, v16
	v_mul_lo_u32 v35, s7, v16
	v_mad_u64_u32 v[18:19], s[4:5], s6, v16, 0
	v_mul_lo_u32 v20, s6, v20
	v_add_u32_e32 v16, 1, v16
	v_ashrrev_i32_e32 v36, 31, v17
	v_mul_lo_u32 v41, s7, v17
	v_add3_u32 v19, v19, v20, v35
	v_lshlrev_b64 v[18:19], 3, v[18:19]
	v_mad_u64_u32 v[33:34], s[4:5], s6, v17, 0
	v_add_u32_e32 v39, 1, v17
	v_ashrrev_i32_e32 v37, 31, v16
	v_mul_lo_u32 v40, s7, v16
	v_mad_u64_u32 v[16:17], s[4:5], s6, v16, 0
	v_add_co_u32_e64 v18, s[4:5], v31, v18
	v_mul_lo_u32 v44, s6, v37
	v_addc_co_u32_e64 v19, s[4:5], v32, v19, s[4:5]
	global_load_dwordx2 v[37:38], v[18:19], off
	v_add3_u32 v17, v17, v44, v40
	v_lshlrev_b64 v[16:17], 3, v[16:17]
	v_mad_u64_u32 v[18:19], s[4:5], s6, v39, 0
	v_add_co_u32_e64 v16, s[4:5], v31, v16
	v_mul_lo_u32 v36, s6, v36
	v_addc_co_u32_e64 v17, s[4:5], v32, v17, s[4:5]
	v_ashrrev_i32_e32 v42, 31, v39
	v_mul_lo_u32 v43, s7, v39
	global_load_dwordx2 v[39:40], v[16:17], off
	v_add3_u32 v34, v34, v36, v41
	v_lshlrev_b64 v[16:17], 3, v[33:34]
	v_mul_lo_u32 v20, s6, v42
	v_add_co_u32_e64 v16, s[4:5], v31, v16
	v_addc_co_u32_e64 v17, s[4:5], v32, v17, s[4:5]
	global_load_dwordx2 v[41:42], v[16:17], off
	v_add3_u32 v19, v19, v20, v43
	v_lshlrev_b64 v[16:17], 3, v[18:19]
	v_add_co_u32_e64 v16, s[4:5], v31, v16
	v_addc_co_u32_e64 v17, s[4:5], v32, v17, s[4:5]
	global_load_dwordx2 v[43:44], v[16:17], off
	ds_read_b128 v[16:19], v15
	ds_read2_b64 v[33:36], v15 offset0:3 offset1:4
	v_add_u32_e32 v15, 48, v15
	s_waitcnt vmcnt(3) lgkmcnt(1)
	v_fma_f64 v[11:12], v[16:17], v[37:38], v[11:12]
	s_waitcnt vmcnt(2)
	v_fma_f64 v[11:12], v[18:19], v[39:40], v[11:12]
	s_waitcnt vmcnt(1) lgkmcnt(0)
	v_fma_f64 v[11:12], v[33:34], v[41:42], v[11:12]
	s_waitcnt vmcnt(0)
	v_fma_f64 v[11:12], v[35:36], v[43:44], v[11:12]
	s_cbranch_scc1 .LBB39_16
	s_branch .LBB39_11
.LBB39_17:                              ;   in Loop: Header=BB39_9 Depth=1
	s_or_b64 exec, exec, s[18:19]
.LBB39_18:                              ;   in Loop: Header=BB39_9 Depth=1
	s_or_b64 exec, exec, s[12:13]
	v_cmp_gt_i32_e32 vcc, s22, v9
	s_and_saveexec_b64 s[4:5], vcc
	s_cbranch_execz .LBB39_8
; %bb.19:                               ;   in Loop: Header=BB39_9 Depth=1
	s_and_saveexec_b64 s[12:13], s[0:1]
	s_xor_b64 s[12:13], exec, s[12:13]
	s_cbranch_execz .LBB39_24
; %bb.20:                               ;   in Loop: Header=BB39_9 Depth=1
	s_mov_b64 s[18:19], -1
	s_and_b64 vcc, exec, s[8:9]
	s_cbranch_vccz .LBB39_22
; %bb.21:                               ;   in Loop: Header=BB39_9 Depth=1
	v_lshlrev_b64 v[13:14], 3, v[9:10]
	v_mul_f64 v[17:18], v[1:2], v[11:12]
	v_add_co_u32_e32 v13, vcc, v28, v13
	v_addc_co_u32_e32 v14, vcc, v29, v14, vcc
	global_load_dwordx2 v[15:16], v[13:14], off
	s_mov_b64 s[18:19], 0
	s_waitcnt vmcnt(0)
	v_fma_f64 v[15:16], v[3:4], v[15:16], v[17:18]
	global_store_dwordx2 v[13:14], v[15:16], off
.LBB39_22:                              ;   in Loop: Header=BB39_9 Depth=1
	s_andn2_b64 vcc, exec, s[18:19]
	s_cbranch_vccnz .LBB39_24
; %bb.23:                               ;   in Loop: Header=BB39_9 Depth=1
	v_mul_lo_u32 v13, s27, v9
	v_mul_lo_u32 v14, s26, v10
	v_mad_u64_u32 v[9:10], s[18:19], s26, v9, 0
	v_mul_f64 v[11:12], v[1:2], v[11:12]
	v_add3_u32 v10, v10, v14, v13
	v_lshlrev_b64 v[9:10], 3, v[9:10]
	v_add_co_u32_e32 v9, vcc, v24, v9
	v_addc_co_u32_e32 v10, vcc, v25, v10, vcc
	global_load_dwordx2 v[13:14], v[9:10], off
	s_waitcnt vmcnt(0)
	v_fma_f64 v[11:12], v[3:4], v[13:14], v[11:12]
	global_store_dwordx2 v[9:10], v[11:12], off
                                        ; implicit-def: $vgpr11_vgpr12
                                        ; implicit-def: $vgpr9
.LBB39_24:                              ;   in Loop: Header=BB39_9 Depth=1
	s_andn2_saveexec_b64 s[12:13], s[12:13]
	s_cbranch_execz .LBB39_8
; %bb.25:                               ;   in Loop: Header=BB39_9 Depth=1
	v_mul_f64 v[11:12], v[1:2], v[11:12]
	s_mov_b64 s[12:13], -1
	s_and_b64 vcc, exec, s[8:9]
	s_cbranch_vccz .LBB39_27
; %bb.26:                               ;   in Loop: Header=BB39_9 Depth=1
	v_lshlrev_b64 v[13:14], 3, v[9:10]
	s_mov_b64 s[12:13], 0
	v_add_co_u32_e32 v13, vcc, v28, v13
	v_addc_co_u32_e32 v14, vcc, v29, v14, vcc
	global_store_dwordx2 v[13:14], v[11:12], off
.LBB39_27:                              ;   in Loop: Header=BB39_9 Depth=1
	s_andn2_b64 vcc, exec, s[12:13]
	s_cbranch_vccnz .LBB39_8
; %bb.28:                               ;   in Loop: Header=BB39_9 Depth=1
	v_mul_lo_u32 v13, s27, v9
	v_mul_lo_u32 v14, s26, v10
	v_mad_u64_u32 v[9:10], s[12:13], s26, v9, 0
	v_add3_u32 v10, v10, v14, v13
	v_lshlrev_b64 v[9:10], 3, v[9:10]
	v_add_co_u32_e32 v9, vcc, v24, v9
	v_addc_co_u32_e32 v10, vcc, v25, v10, vcc
	global_store_dwordx2 v[9:10], v[11:12], off
	s_branch .LBB39_8
.LBB39_29:
	s_endpgm
	.section	.rodata,"a",@progbits
	.p2align	6, 0x0
	.amdhsa_kernel _ZN9rocsparseL29bsrmmnt_small_blockdim_kernelILj64ELj32ELj2EliddddEEv20rocsparse_direction_T3_S2_llNS_24const_host_device_scalarIT7_EEPKT2_PKS2_PKT4_PKT5_llS5_PT6_ll16rocsparse_order_21rocsparse_index_base_b
		.amdhsa_group_segment_fixed_size 1792
		.amdhsa_private_segment_fixed_size 0
		.amdhsa_kernarg_size 392
		.amdhsa_user_sgpr_count 6
		.amdhsa_user_sgpr_private_segment_buffer 1
		.amdhsa_user_sgpr_dispatch_ptr 0
		.amdhsa_user_sgpr_queue_ptr 0
		.amdhsa_user_sgpr_kernarg_segment_ptr 1
		.amdhsa_user_sgpr_dispatch_id 0
		.amdhsa_user_sgpr_flat_scratch_init 0
		.amdhsa_user_sgpr_private_segment_size 0
		.amdhsa_uses_dynamic_stack 0
		.amdhsa_system_sgpr_private_segment_wavefront_offset 0
		.amdhsa_system_sgpr_workgroup_id_x 1
		.amdhsa_system_sgpr_workgroup_id_y 0
		.amdhsa_system_sgpr_workgroup_id_z 0
		.amdhsa_system_sgpr_workgroup_info 0
		.amdhsa_system_vgpr_workitem_id 0
		.amdhsa_next_free_vgpr 45
		.amdhsa_next_free_sgpr 61
		.amdhsa_reserve_vcc 1
		.amdhsa_reserve_flat_scratch 0
		.amdhsa_float_round_mode_32 0
		.amdhsa_float_round_mode_16_64 0
		.amdhsa_float_denorm_mode_32 3
		.amdhsa_float_denorm_mode_16_64 3
		.amdhsa_dx10_clamp 1
		.amdhsa_ieee_mode 1
		.amdhsa_fp16_overflow 0
		.amdhsa_exception_fp_ieee_invalid_op 0
		.amdhsa_exception_fp_denorm_src 0
		.amdhsa_exception_fp_ieee_div_zero 0
		.amdhsa_exception_fp_ieee_overflow 0
		.amdhsa_exception_fp_ieee_underflow 0
		.amdhsa_exception_fp_ieee_inexact 0
		.amdhsa_exception_int_div_zero 0
	.end_amdhsa_kernel
	.section	.text._ZN9rocsparseL29bsrmmnt_small_blockdim_kernelILj64ELj32ELj2EliddddEEv20rocsparse_direction_T3_S2_llNS_24const_host_device_scalarIT7_EEPKT2_PKS2_PKT4_PKT5_llS5_PT6_ll16rocsparse_order_21rocsparse_index_base_b,"axG",@progbits,_ZN9rocsparseL29bsrmmnt_small_blockdim_kernelILj64ELj32ELj2EliddddEEv20rocsparse_direction_T3_S2_llNS_24const_host_device_scalarIT7_EEPKT2_PKS2_PKT4_PKT5_llS5_PT6_ll16rocsparse_order_21rocsparse_index_base_b,comdat
.Lfunc_end39:
	.size	_ZN9rocsparseL29bsrmmnt_small_blockdim_kernelILj64ELj32ELj2EliddddEEv20rocsparse_direction_T3_S2_llNS_24const_host_device_scalarIT7_EEPKT2_PKS2_PKT4_PKT5_llS5_PT6_ll16rocsparse_order_21rocsparse_index_base_b, .Lfunc_end39-_ZN9rocsparseL29bsrmmnt_small_blockdim_kernelILj64ELj32ELj2EliddddEEv20rocsparse_direction_T3_S2_llNS_24const_host_device_scalarIT7_EEPKT2_PKS2_PKT4_PKT5_llS5_PT6_ll16rocsparse_order_21rocsparse_index_base_b
                                        ; -- End function
	.set _ZN9rocsparseL29bsrmmnt_small_blockdim_kernelILj64ELj32ELj2EliddddEEv20rocsparse_direction_T3_S2_llNS_24const_host_device_scalarIT7_EEPKT2_PKS2_PKT4_PKT5_llS5_PT6_ll16rocsparse_order_21rocsparse_index_base_b.num_vgpr, 45
	.set _ZN9rocsparseL29bsrmmnt_small_blockdim_kernelILj64ELj32ELj2EliddddEEv20rocsparse_direction_T3_S2_llNS_24const_host_device_scalarIT7_EEPKT2_PKS2_PKT4_PKT5_llS5_PT6_ll16rocsparse_order_21rocsparse_index_base_b.num_agpr, 0
	.set _ZN9rocsparseL29bsrmmnt_small_blockdim_kernelILj64ELj32ELj2EliddddEEv20rocsparse_direction_T3_S2_llNS_24const_host_device_scalarIT7_EEPKT2_PKS2_PKT4_PKT5_llS5_PT6_ll16rocsparse_order_21rocsparse_index_base_b.numbered_sgpr, 28
	.set _ZN9rocsparseL29bsrmmnt_small_blockdim_kernelILj64ELj32ELj2EliddddEEv20rocsparse_direction_T3_S2_llNS_24const_host_device_scalarIT7_EEPKT2_PKS2_PKT4_PKT5_llS5_PT6_ll16rocsparse_order_21rocsparse_index_base_b.num_named_barrier, 0
	.set _ZN9rocsparseL29bsrmmnt_small_blockdim_kernelILj64ELj32ELj2EliddddEEv20rocsparse_direction_T3_S2_llNS_24const_host_device_scalarIT7_EEPKT2_PKS2_PKT4_PKT5_llS5_PT6_ll16rocsparse_order_21rocsparse_index_base_b.private_seg_size, 0
	.set _ZN9rocsparseL29bsrmmnt_small_blockdim_kernelILj64ELj32ELj2EliddddEEv20rocsparse_direction_T3_S2_llNS_24const_host_device_scalarIT7_EEPKT2_PKS2_PKT4_PKT5_llS5_PT6_ll16rocsparse_order_21rocsparse_index_base_b.uses_vcc, 1
	.set _ZN9rocsparseL29bsrmmnt_small_blockdim_kernelILj64ELj32ELj2EliddddEEv20rocsparse_direction_T3_S2_llNS_24const_host_device_scalarIT7_EEPKT2_PKS2_PKT4_PKT5_llS5_PT6_ll16rocsparse_order_21rocsparse_index_base_b.uses_flat_scratch, 0
	.set _ZN9rocsparseL29bsrmmnt_small_blockdim_kernelILj64ELj32ELj2EliddddEEv20rocsparse_direction_T3_S2_llNS_24const_host_device_scalarIT7_EEPKT2_PKS2_PKT4_PKT5_llS5_PT6_ll16rocsparse_order_21rocsparse_index_base_b.has_dyn_sized_stack, 0
	.set _ZN9rocsparseL29bsrmmnt_small_blockdim_kernelILj64ELj32ELj2EliddddEEv20rocsparse_direction_T3_S2_llNS_24const_host_device_scalarIT7_EEPKT2_PKS2_PKT4_PKT5_llS5_PT6_ll16rocsparse_order_21rocsparse_index_base_b.has_recursion, 0
	.set _ZN9rocsparseL29bsrmmnt_small_blockdim_kernelILj64ELj32ELj2EliddddEEv20rocsparse_direction_T3_S2_llNS_24const_host_device_scalarIT7_EEPKT2_PKS2_PKT4_PKT5_llS5_PT6_ll16rocsparse_order_21rocsparse_index_base_b.has_indirect_call, 0
	.section	.AMDGPU.csdata,"",@progbits
; Kernel info:
; codeLenInByte = 1480
; TotalNumSgprs: 32
; NumVgprs: 45
; ScratchSize: 0
; MemoryBound: 0
; FloatMode: 240
; IeeeMode: 1
; LDSByteSize: 1792 bytes/workgroup (compile time only)
; SGPRBlocks: 8
; VGPRBlocks: 11
; NumSGPRsForWavesPerEU: 65
; NumVGPRsForWavesPerEU: 45
; Occupancy: 5
; WaveLimiterHint : 1
; COMPUTE_PGM_RSRC2:SCRATCH_EN: 0
; COMPUTE_PGM_RSRC2:USER_SGPR: 6
; COMPUTE_PGM_RSRC2:TRAP_HANDLER: 0
; COMPUTE_PGM_RSRC2:TGID_X_EN: 1
; COMPUTE_PGM_RSRC2:TGID_Y_EN: 0
; COMPUTE_PGM_RSRC2:TGID_Z_EN: 0
; COMPUTE_PGM_RSRC2:TIDIG_COMP_CNT: 0
	.section	.text._ZN9rocsparseL29bsrmmnt_small_blockdim_kernelILj64ELj64ELj2EliddddEEv20rocsparse_direction_T3_S2_llNS_24const_host_device_scalarIT7_EEPKT2_PKS2_PKT4_PKT5_llS5_PT6_ll16rocsparse_order_21rocsparse_index_base_b,"axG",@progbits,_ZN9rocsparseL29bsrmmnt_small_blockdim_kernelILj64ELj64ELj2EliddddEEv20rocsparse_direction_T3_S2_llNS_24const_host_device_scalarIT7_EEPKT2_PKS2_PKT4_PKT5_llS5_PT6_ll16rocsparse_order_21rocsparse_index_base_b,comdat
	.globl	_ZN9rocsparseL29bsrmmnt_small_blockdim_kernelILj64ELj64ELj2EliddddEEv20rocsparse_direction_T3_S2_llNS_24const_host_device_scalarIT7_EEPKT2_PKS2_PKT4_PKT5_llS5_PT6_ll16rocsparse_order_21rocsparse_index_base_b ; -- Begin function _ZN9rocsparseL29bsrmmnt_small_blockdim_kernelILj64ELj64ELj2EliddddEEv20rocsparse_direction_T3_S2_llNS_24const_host_device_scalarIT7_EEPKT2_PKS2_PKT4_PKT5_llS5_PT6_ll16rocsparse_order_21rocsparse_index_base_b
	.p2align	8
	.type	_ZN9rocsparseL29bsrmmnt_small_blockdim_kernelILj64ELj64ELj2EliddddEEv20rocsparse_direction_T3_S2_llNS_24const_host_device_scalarIT7_EEPKT2_PKS2_PKT4_PKT5_llS5_PT6_ll16rocsparse_order_21rocsparse_index_base_b,@function
_ZN9rocsparseL29bsrmmnt_small_blockdim_kernelILj64ELj64ELj2EliddddEEv20rocsparse_direction_T3_S2_llNS_24const_host_device_scalarIT7_EEPKT2_PKS2_PKT4_PKT5_llS5_PT6_ll16rocsparse_order_21rocsparse_index_base_b: ; @_ZN9rocsparseL29bsrmmnt_small_blockdim_kernelILj64ELj64ELj2EliddddEEv20rocsparse_direction_T3_S2_llNS_24const_host_device_scalarIT7_EEPKT2_PKS2_PKT4_PKT5_llS5_PT6_ll16rocsparse_order_21rocsparse_index_base_b
; %bb.0:
	s_load_dwordx4 s[16:19], s[4:5], 0x78
	s_load_dwordx2 s[8:9], s[4:5], 0x20
	s_load_dwordx2 s[0:1], s[4:5], 0x58
	s_waitcnt lgkmcnt(0)
	s_bitcmp1_b32 s18, 0
	s_cselect_b64 s[10:11], -1, 0
	v_mov_b32_e32 v1, s8
	s_xor_b64 s[2:3], s[10:11], -1
	s_and_b64 vcc, exec, s[10:11]
	v_mov_b32_e32 v2, s9
	s_cbranch_vccnz .LBB40_2
; %bb.1:
	v_mov_b32_e32 v1, s8
	v_mov_b32_e32 v2, s9
	flat_load_dwordx2 v[1:2], v[1:2]
.LBB40_2:
	v_mov_b32_e32 v4, s1
	s_andn2_b64 vcc, exec, s[2:3]
	v_mov_b32_e32 v3, s0
	s_cbranch_vccnz .LBB40_4
; %bb.3:
	v_mov_b32_e32 v4, s1
	v_mov_b32_e32 v3, s0
	flat_load_dwordx2 v[3:4], v[3:4]
.LBB40_4:
	s_waitcnt vmcnt(0) lgkmcnt(0)
	v_cmp_neq_f64_e32 vcc, 0, v[1:2]
	v_cmp_neq_f64_e64 s[0:1], 1.0, v[3:4]
	s_or_b64 s[0:1], vcc, s[0:1]
	s_and_saveexec_b64 s[2:3], s[0:1]
	s_cbranch_execz .LBB40_29
; %bb.5:
	s_load_dword s0, s[4:5], 0x94
	s_load_dwordx4 s[20:23], s[4:5], 0x0
	s_waitcnt lgkmcnt(0)
	s_and_b32 s0, s0, 0xffff
	s_mul_i32 s6, s6, s0
	v_add_u32_e32 v5, s6, v0
	v_lshrrev_b32_e32 v6, 7, v5
	v_cmp_gt_i32_e32 vcc, s21, v6
	s_and_b64 exec, exec, vcc
	s_cbranch_execz .LBB40_29
; %bb.6:
	s_cmp_lt_i32 s22, 1
	s_cbranch_scc1 .LBB40_29
; %bb.7:
	s_load_dwordx8 s[8:15], s[4:5], 0x28
	v_lshlrev_b32_e32 v6, 3, v6
	s_cmp_lg_u32 s16, 1
	v_lshrrev_b32_e32 v7, 6, v5
	v_bfe_u32 v5, v5, 6, 1
	s_waitcnt lgkmcnt(0)
	global_load_dwordx4 v[9:12], v6, s[8:9]
	s_load_dwordx4 s[24:27], s[4:5], 0x60
	s_load_dwordx2 s[6:7], s[4:5], 0x48
	s_cselect_b64 s[8:9], -1, 0
	s_cmp_eq_u32 s20, 0
	s_cselect_b64 s[4:5], -1, 0
	v_cndmask_b32_e64 v6, 0, 1, s[4:5]
	v_lshlrev_b32_e32 v5, v6, v5
	v_lshlrev_b32_e32 v13, 3, v5
	s_waitcnt lgkmcnt(0)
	v_mad_u64_u32 v[5:6], s[2:3], s26, v7, 0
	v_lshlrev_b32_e32 v8, 3, v7
	v_mov_b32_e32 v15, s25
	v_mad_u64_u32 v[6:7], s[2:3], s27, v7, v[6:7]
	v_add_co_u32_e32 v24, vcc, s24, v8
	v_addc_co_u32_e32 v25, vcc, 0, v15, vcc
	v_cmp_neq_f64_e64 s[0:1], 0, v[3:4]
	v_mov_b32_e32 v16, s13
	v_add_co_u32_e32 v26, vcc, s12, v13
	v_lshlrev_b64 v[5:6], 3, v[5:6]
	v_addc_co_u32_e32 v27, vcc, 0, v16, vcc
	v_mov_b32_e32 v14, s25
	v_add_co_u32_e32 v28, vcc, s24, v5
	v_addc_co_u32_e32 v29, vcc, v14, v6, vcc
	v_mov_b32_e32 v21, 0x600
	s_and_b64 s[4:5], s[4:5], exec
	s_mov_b32 s23, 0
	v_mul_u32_u24_e32 v22, 24, v0
	v_lshl_or_b32 v23, v0, 2, v21
	s_cselect_b32 s16, 8, 16
	s_waitcnt vmcnt(0)
	v_subrev_co_u32_e32 v5, vcc, s17, v9
	v_subbrev_co_u32_e32 v6, vcc, 0, v10, vcc
	v_subrev_co_u32_e32 v7, vcc, s17, v11
	v_cmp_lt_i64_e64 s[2:3], v[9:10], v[11:12]
	v_subbrev_co_u32_e32 v8, vcc, 0, v12, vcc
	s_branch .LBB40_9
.LBB40_8:                               ;   in Loop: Header=BB40_9 Depth=1
	s_or_b64 exec, exec, s[4:5]
	s_add_i32 s23, s23, 64
	s_cmp_lt_i32 s23, s22
	s_cbranch_scc0 .LBB40_29
.LBB40_9:                               ; =>This Loop Header: Depth=1
                                        ;     Child Loop BB40_12 Depth 2
                                        ;       Child Loop BB40_16 Depth 3
	v_or_b32_e32 v9, s23, v0
	v_mov_b32_e32 v11, 0
	v_mov_b32_e32 v12, 0
	v_ashrrev_i32_e32 v10, 31, v9
	s_and_saveexec_b64 s[12:13], s[2:3]
	s_cbranch_execz .LBB40_18
; %bb.10:                               ;   in Loop: Header=BB40_9 Depth=1
	v_lshlrev_b64 v[11:12], 3, v[9:10]
	v_mov_b32_e32 v13, s15
	v_add_co_u32_e64 v30, s[4:5], s14, v11
	v_addc_co_u32_e64 v31, s[4:5], v13, v12, s[4:5]
	v_mov_b32_e32 v11, 0
	v_mov_b32_e32 v14, v6
	v_cmp_gt_i32_e32 vcc, s22, v9
	v_mov_b32_e32 v12, 0
	s_mov_b64 s[18:19], 0
	v_mov_b32_e32 v13, v5
	s_branch .LBB40_12
.LBB40_11:                              ;   in Loop: Header=BB40_12 Depth=2
	s_or_b64 exec, exec, s[20:21]
	v_add_co_u32_e64 v13, s[4:5], 64, v13
	v_addc_co_u32_e64 v14, s[4:5], 0, v14, s[4:5]
	v_cmp_ge_i64_e64 s[4:5], v[13:14], v[7:8]
	s_or_b64 s[18:19], s[4:5], s[18:19]
	s_andn2_b64 exec, exec, s[18:19]
	s_cbranch_execz .LBB40_17
.LBB40_12:                              ;   Parent Loop BB40_9 Depth=1
                                        ; =>  This Loop Header: Depth=2
                                        ;       Child Loop BB40_16 Depth 3
	v_add_co_u32_e64 v17, s[4:5], v13, v0
	v_addc_co_u32_e64 v18, s[4:5], 0, v14, s[4:5]
	v_cmp_lt_i64_e64 s[4:5], v[17:18], v[7:8]
	v_mov_b32_e32 v15, 0
	v_mov_b32_e32 v19, 0
	v_mov_b32_e32 v16, 0
	v_mov_b32_e32 v20, 0
	v_mov_b32_e32 v32, 0
	s_and_saveexec_b64 s[20:21], s[4:5]
	s_cbranch_execz .LBB40_14
; %bb.13:                               ;   in Loop: Header=BB40_12 Depth=2
	v_lshlrev_b64 v[15:16], 2, v[17:18]
	v_mov_b32_e32 v19, s11
	v_add_co_u32_e64 v15, s[4:5], s10, v15
	v_addc_co_u32_e64 v16, s[4:5], v19, v16, s[4:5]
	global_load_dword v34, v[15:16], off
	v_lshlrev_b64 v[15:16], 5, v[17:18]
	v_add_co_u32_e64 v17, s[4:5], v26, v15
	v_addc_co_u32_e64 v18, s[4:5], v27, v16, s[4:5]
	v_add_co_u32_e64 v32, s[4:5], s16, v17
	v_addc_co_u32_e64 v33, s[4:5], 0, v18, s[4:5]
	global_load_dwordx2 v[15:16], v[17:18], off
	global_load_dwordx2 v[19:20], v[32:33], off
	s_waitcnt vmcnt(2)
	v_subrev_u32_e32 v17, s17, v34
	v_lshlrev_b32_e32 v32, 1, v17
.LBB40_14:                              ;   in Loop: Header=BB40_12 Depth=2
	s_or_b64 exec, exec, s[20:21]
	ds_write_b32 v23, v32
	s_waitcnt vmcnt(0)
	ds_write2_b64 v22, v[15:16], v[19:20] offset1:1
	s_waitcnt lgkmcnt(0)
	; wave barrier
	s_and_saveexec_b64 s[20:21], vcc
	s_cbranch_execz .LBB40_11
; %bb.15:                               ;   in Loop: Header=BB40_12 Depth=2
	s_mov_b32 s24, 0
	v_mov_b32_e32 v15, 0
.LBB40_16:                              ;   Parent Loop BB40_9 Depth=1
                                        ;     Parent Loop BB40_12 Depth=2
                                        ; =>    This Inner Loop Header: Depth=3
	v_add_u32_e32 v16, s24, v21
	ds_read_b64 v[16:17], v16
	s_add_i32 s24, s24, 8
	s_cmpk_lg_i32 s24, 0x100
	s_waitcnt lgkmcnt(0)
	v_ashrrev_i32_e32 v20, 31, v16
	v_mul_lo_u32 v34, s7, v16
	v_mad_u64_u32 v[18:19], s[4:5], s6, v16, 0
	v_mul_lo_u32 v20, s6, v20
	v_add_u32_e32 v16, 1, v16
	v_ashrrev_i32_e32 v35, 31, v17
	v_mul_lo_u32 v40, s7, v17
	v_add3_u32 v19, v19, v20, v34
	v_lshlrev_b64 v[18:19], 3, v[18:19]
	v_mad_u64_u32 v[32:33], s[4:5], s6, v17, 0
	v_add_u32_e32 v38, 1, v17
	v_ashrrev_i32_e32 v36, 31, v16
	v_mul_lo_u32 v39, s7, v16
	v_mad_u64_u32 v[16:17], s[4:5], s6, v16, 0
	v_add_co_u32_e64 v18, s[4:5], v30, v18
	v_mul_lo_u32 v43, s6, v36
	v_addc_co_u32_e64 v19, s[4:5], v31, v19, s[4:5]
	global_load_dwordx2 v[36:37], v[18:19], off
	v_add3_u32 v17, v17, v43, v39
	v_lshlrev_b64 v[16:17], 3, v[16:17]
	v_mad_u64_u32 v[18:19], s[4:5], s6, v38, 0
	v_add_co_u32_e64 v16, s[4:5], v30, v16
	v_mul_lo_u32 v35, s6, v35
	v_addc_co_u32_e64 v17, s[4:5], v31, v17, s[4:5]
	v_ashrrev_i32_e32 v41, 31, v38
	v_mul_lo_u32 v42, s7, v38
	global_load_dwordx2 v[38:39], v[16:17], off
	v_add3_u32 v33, v33, v35, v40
	v_lshlrev_b64 v[16:17], 3, v[32:33]
	v_mul_lo_u32 v20, s6, v41
	v_add_co_u32_e64 v16, s[4:5], v30, v16
	v_addc_co_u32_e64 v17, s[4:5], v31, v17, s[4:5]
	global_load_dwordx2 v[40:41], v[16:17], off
	v_add3_u32 v19, v19, v20, v42
	v_lshlrev_b64 v[16:17], 3, v[18:19]
	v_add_co_u32_e64 v16, s[4:5], v30, v16
	v_addc_co_u32_e64 v17, s[4:5], v31, v17, s[4:5]
	global_load_dwordx2 v[42:43], v[16:17], off
	ds_read_b128 v[16:19], v15
	ds_read2_b64 v[32:35], v15 offset0:3 offset1:4
	v_add_u32_e32 v15, 48, v15
	s_waitcnt vmcnt(3) lgkmcnt(1)
	v_fma_f64 v[11:12], v[16:17], v[36:37], v[11:12]
	s_waitcnt vmcnt(2)
	v_fma_f64 v[11:12], v[18:19], v[38:39], v[11:12]
	s_waitcnt vmcnt(1) lgkmcnt(0)
	v_fma_f64 v[11:12], v[32:33], v[40:41], v[11:12]
	s_waitcnt vmcnt(0)
	v_fma_f64 v[11:12], v[34:35], v[42:43], v[11:12]
	s_cbranch_scc1 .LBB40_16
	s_branch .LBB40_11
.LBB40_17:                              ;   in Loop: Header=BB40_9 Depth=1
	s_or_b64 exec, exec, s[18:19]
.LBB40_18:                              ;   in Loop: Header=BB40_9 Depth=1
	s_or_b64 exec, exec, s[12:13]
	v_cmp_gt_i32_e32 vcc, s22, v9
	s_and_saveexec_b64 s[4:5], vcc
	s_cbranch_execz .LBB40_8
; %bb.19:                               ;   in Loop: Header=BB40_9 Depth=1
	s_and_saveexec_b64 s[12:13], s[0:1]
	s_xor_b64 s[12:13], exec, s[12:13]
	s_cbranch_execz .LBB40_24
; %bb.20:                               ;   in Loop: Header=BB40_9 Depth=1
	s_mov_b64 s[18:19], -1
	s_and_b64 vcc, exec, s[8:9]
	s_cbranch_vccz .LBB40_22
; %bb.21:                               ;   in Loop: Header=BB40_9 Depth=1
	v_lshlrev_b64 v[13:14], 3, v[9:10]
	v_mul_f64 v[17:18], v[1:2], v[11:12]
	v_add_co_u32_e32 v13, vcc, v28, v13
	v_addc_co_u32_e32 v14, vcc, v29, v14, vcc
	global_load_dwordx2 v[15:16], v[13:14], off
	s_mov_b64 s[18:19], 0
	s_waitcnt vmcnt(0)
	v_fma_f64 v[15:16], v[3:4], v[15:16], v[17:18]
	global_store_dwordx2 v[13:14], v[15:16], off
.LBB40_22:                              ;   in Loop: Header=BB40_9 Depth=1
	s_andn2_b64 vcc, exec, s[18:19]
	s_cbranch_vccnz .LBB40_24
; %bb.23:                               ;   in Loop: Header=BB40_9 Depth=1
	v_mul_lo_u32 v13, s27, v9
	v_mul_lo_u32 v14, s26, v10
	v_mad_u64_u32 v[9:10], s[18:19], s26, v9, 0
	v_mul_f64 v[11:12], v[1:2], v[11:12]
	v_add3_u32 v10, v10, v14, v13
	v_lshlrev_b64 v[9:10], 3, v[9:10]
	v_add_co_u32_e32 v9, vcc, v24, v9
	v_addc_co_u32_e32 v10, vcc, v25, v10, vcc
	global_load_dwordx2 v[13:14], v[9:10], off
	s_waitcnt vmcnt(0)
	v_fma_f64 v[11:12], v[3:4], v[13:14], v[11:12]
	global_store_dwordx2 v[9:10], v[11:12], off
                                        ; implicit-def: $vgpr11_vgpr12
                                        ; implicit-def: $vgpr9
.LBB40_24:                              ;   in Loop: Header=BB40_9 Depth=1
	s_andn2_saveexec_b64 s[12:13], s[12:13]
	s_cbranch_execz .LBB40_8
; %bb.25:                               ;   in Loop: Header=BB40_9 Depth=1
	v_mul_f64 v[11:12], v[1:2], v[11:12]
	s_mov_b64 s[12:13], -1
	s_and_b64 vcc, exec, s[8:9]
	s_cbranch_vccz .LBB40_27
; %bb.26:                               ;   in Loop: Header=BB40_9 Depth=1
	v_lshlrev_b64 v[13:14], 3, v[9:10]
	s_mov_b64 s[12:13], 0
	v_add_co_u32_e32 v13, vcc, v28, v13
	v_addc_co_u32_e32 v14, vcc, v29, v14, vcc
	global_store_dwordx2 v[13:14], v[11:12], off
.LBB40_27:                              ;   in Loop: Header=BB40_9 Depth=1
	s_andn2_b64 vcc, exec, s[12:13]
	s_cbranch_vccnz .LBB40_8
; %bb.28:                               ;   in Loop: Header=BB40_9 Depth=1
	v_mul_lo_u32 v13, s27, v9
	v_mul_lo_u32 v14, s26, v10
	v_mad_u64_u32 v[9:10], s[12:13], s26, v9, 0
	v_add3_u32 v10, v10, v14, v13
	v_lshlrev_b64 v[9:10], 3, v[9:10]
	v_add_co_u32_e32 v9, vcc, v24, v9
	v_addc_co_u32_e32 v10, vcc, v25, v10, vcc
	global_store_dwordx2 v[9:10], v[11:12], off
	s_branch .LBB40_8
.LBB40_29:
	s_endpgm
	.section	.rodata,"a",@progbits
	.p2align	6, 0x0
	.amdhsa_kernel _ZN9rocsparseL29bsrmmnt_small_blockdim_kernelILj64ELj64ELj2EliddddEEv20rocsparse_direction_T3_S2_llNS_24const_host_device_scalarIT7_EEPKT2_PKS2_PKT4_PKT5_llS5_PT6_ll16rocsparse_order_21rocsparse_index_base_b
		.amdhsa_group_segment_fixed_size 1792
		.amdhsa_private_segment_fixed_size 0
		.amdhsa_kernarg_size 392
		.amdhsa_user_sgpr_count 6
		.amdhsa_user_sgpr_private_segment_buffer 1
		.amdhsa_user_sgpr_dispatch_ptr 0
		.amdhsa_user_sgpr_queue_ptr 0
		.amdhsa_user_sgpr_kernarg_segment_ptr 1
		.amdhsa_user_sgpr_dispatch_id 0
		.amdhsa_user_sgpr_flat_scratch_init 0
		.amdhsa_user_sgpr_private_segment_size 0
		.amdhsa_uses_dynamic_stack 0
		.amdhsa_system_sgpr_private_segment_wavefront_offset 0
		.amdhsa_system_sgpr_workgroup_id_x 1
		.amdhsa_system_sgpr_workgroup_id_y 0
		.amdhsa_system_sgpr_workgroup_id_z 0
		.amdhsa_system_sgpr_workgroup_info 0
		.amdhsa_system_vgpr_workitem_id 0
		.amdhsa_next_free_vgpr 44
		.amdhsa_next_free_sgpr 61
		.amdhsa_reserve_vcc 1
		.amdhsa_reserve_flat_scratch 0
		.amdhsa_float_round_mode_32 0
		.amdhsa_float_round_mode_16_64 0
		.amdhsa_float_denorm_mode_32 3
		.amdhsa_float_denorm_mode_16_64 3
		.amdhsa_dx10_clamp 1
		.amdhsa_ieee_mode 1
		.amdhsa_fp16_overflow 0
		.amdhsa_exception_fp_ieee_invalid_op 0
		.amdhsa_exception_fp_denorm_src 0
		.amdhsa_exception_fp_ieee_div_zero 0
		.amdhsa_exception_fp_ieee_overflow 0
		.amdhsa_exception_fp_ieee_underflow 0
		.amdhsa_exception_fp_ieee_inexact 0
		.amdhsa_exception_int_div_zero 0
	.end_amdhsa_kernel
	.section	.text._ZN9rocsparseL29bsrmmnt_small_blockdim_kernelILj64ELj64ELj2EliddddEEv20rocsparse_direction_T3_S2_llNS_24const_host_device_scalarIT7_EEPKT2_PKS2_PKT4_PKT5_llS5_PT6_ll16rocsparse_order_21rocsparse_index_base_b,"axG",@progbits,_ZN9rocsparseL29bsrmmnt_small_blockdim_kernelILj64ELj64ELj2EliddddEEv20rocsparse_direction_T3_S2_llNS_24const_host_device_scalarIT7_EEPKT2_PKS2_PKT4_PKT5_llS5_PT6_ll16rocsparse_order_21rocsparse_index_base_b,comdat
.Lfunc_end40:
	.size	_ZN9rocsparseL29bsrmmnt_small_blockdim_kernelILj64ELj64ELj2EliddddEEv20rocsparse_direction_T3_S2_llNS_24const_host_device_scalarIT7_EEPKT2_PKS2_PKT4_PKT5_llS5_PT6_ll16rocsparse_order_21rocsparse_index_base_b, .Lfunc_end40-_ZN9rocsparseL29bsrmmnt_small_blockdim_kernelILj64ELj64ELj2EliddddEEv20rocsparse_direction_T3_S2_llNS_24const_host_device_scalarIT7_EEPKT2_PKS2_PKT4_PKT5_llS5_PT6_ll16rocsparse_order_21rocsparse_index_base_b
                                        ; -- End function
	.set _ZN9rocsparseL29bsrmmnt_small_blockdim_kernelILj64ELj64ELj2EliddddEEv20rocsparse_direction_T3_S2_llNS_24const_host_device_scalarIT7_EEPKT2_PKS2_PKT4_PKT5_llS5_PT6_ll16rocsparse_order_21rocsparse_index_base_b.num_vgpr, 44
	.set _ZN9rocsparseL29bsrmmnt_small_blockdim_kernelILj64ELj64ELj2EliddddEEv20rocsparse_direction_T3_S2_llNS_24const_host_device_scalarIT7_EEPKT2_PKS2_PKT4_PKT5_llS5_PT6_ll16rocsparse_order_21rocsparse_index_base_b.num_agpr, 0
	.set _ZN9rocsparseL29bsrmmnt_small_blockdim_kernelILj64ELj64ELj2EliddddEEv20rocsparse_direction_T3_S2_llNS_24const_host_device_scalarIT7_EEPKT2_PKS2_PKT4_PKT5_llS5_PT6_ll16rocsparse_order_21rocsparse_index_base_b.numbered_sgpr, 28
	.set _ZN9rocsparseL29bsrmmnt_small_blockdim_kernelILj64ELj64ELj2EliddddEEv20rocsparse_direction_T3_S2_llNS_24const_host_device_scalarIT7_EEPKT2_PKS2_PKT4_PKT5_llS5_PT6_ll16rocsparse_order_21rocsparse_index_base_b.num_named_barrier, 0
	.set _ZN9rocsparseL29bsrmmnt_small_blockdim_kernelILj64ELj64ELj2EliddddEEv20rocsparse_direction_T3_S2_llNS_24const_host_device_scalarIT7_EEPKT2_PKS2_PKT4_PKT5_llS5_PT6_ll16rocsparse_order_21rocsparse_index_base_b.private_seg_size, 0
	.set _ZN9rocsparseL29bsrmmnt_small_blockdim_kernelILj64ELj64ELj2EliddddEEv20rocsparse_direction_T3_S2_llNS_24const_host_device_scalarIT7_EEPKT2_PKS2_PKT4_PKT5_llS5_PT6_ll16rocsparse_order_21rocsparse_index_base_b.uses_vcc, 1
	.set _ZN9rocsparseL29bsrmmnt_small_blockdim_kernelILj64ELj64ELj2EliddddEEv20rocsparse_direction_T3_S2_llNS_24const_host_device_scalarIT7_EEPKT2_PKS2_PKT4_PKT5_llS5_PT6_ll16rocsparse_order_21rocsparse_index_base_b.uses_flat_scratch, 0
	.set _ZN9rocsparseL29bsrmmnt_small_blockdim_kernelILj64ELj64ELj2EliddddEEv20rocsparse_direction_T3_S2_llNS_24const_host_device_scalarIT7_EEPKT2_PKS2_PKT4_PKT5_llS5_PT6_ll16rocsparse_order_21rocsparse_index_base_b.has_dyn_sized_stack, 0
	.set _ZN9rocsparseL29bsrmmnt_small_blockdim_kernelILj64ELj64ELj2EliddddEEv20rocsparse_direction_T3_S2_llNS_24const_host_device_scalarIT7_EEPKT2_PKS2_PKT4_PKT5_llS5_PT6_ll16rocsparse_order_21rocsparse_index_base_b.has_recursion, 0
	.set _ZN9rocsparseL29bsrmmnt_small_blockdim_kernelILj64ELj64ELj2EliddddEEv20rocsparse_direction_T3_S2_llNS_24const_host_device_scalarIT7_EEPKT2_PKS2_PKT4_PKT5_llS5_PT6_ll16rocsparse_order_21rocsparse_index_base_b.has_indirect_call, 0
	.section	.AMDGPU.csdata,"",@progbits
; Kernel info:
; codeLenInByte = 1452
; TotalNumSgprs: 32
; NumVgprs: 44
; ScratchSize: 0
; MemoryBound: 0
; FloatMode: 240
; IeeeMode: 1
; LDSByteSize: 1792 bytes/workgroup (compile time only)
; SGPRBlocks: 8
; VGPRBlocks: 10
; NumSGPRsForWavesPerEU: 65
; NumVGPRsForWavesPerEU: 44
; Occupancy: 5
; WaveLimiterHint : 1
; COMPUTE_PGM_RSRC2:SCRATCH_EN: 0
; COMPUTE_PGM_RSRC2:USER_SGPR: 6
; COMPUTE_PGM_RSRC2:TRAP_HANDLER: 0
; COMPUTE_PGM_RSRC2:TGID_X_EN: 1
; COMPUTE_PGM_RSRC2:TGID_Y_EN: 0
; COMPUTE_PGM_RSRC2:TGID_Z_EN: 0
; COMPUTE_PGM_RSRC2:TIDIG_COMP_CNT: 0
	.section	.text._ZN9rocsparseL29bsrmmnt_small_blockdim_kernelILj64ELj8ELj2EllddddEEv20rocsparse_direction_T3_S2_llNS_24const_host_device_scalarIT7_EEPKT2_PKS2_PKT4_PKT5_llS5_PT6_ll16rocsparse_order_21rocsparse_index_base_b,"axG",@progbits,_ZN9rocsparseL29bsrmmnt_small_blockdim_kernelILj64ELj8ELj2EllddddEEv20rocsparse_direction_T3_S2_llNS_24const_host_device_scalarIT7_EEPKT2_PKS2_PKT4_PKT5_llS5_PT6_ll16rocsparse_order_21rocsparse_index_base_b,comdat
	.globl	_ZN9rocsparseL29bsrmmnt_small_blockdim_kernelILj64ELj8ELj2EllddddEEv20rocsparse_direction_T3_S2_llNS_24const_host_device_scalarIT7_EEPKT2_PKS2_PKT4_PKT5_llS5_PT6_ll16rocsparse_order_21rocsparse_index_base_b ; -- Begin function _ZN9rocsparseL29bsrmmnt_small_blockdim_kernelILj64ELj8ELj2EllddddEEv20rocsparse_direction_T3_S2_llNS_24const_host_device_scalarIT7_EEPKT2_PKS2_PKT4_PKT5_llS5_PT6_ll16rocsparse_order_21rocsparse_index_base_b
	.p2align	8
	.type	_ZN9rocsparseL29bsrmmnt_small_blockdim_kernelILj64ELj8ELj2EllddddEEv20rocsparse_direction_T3_S2_llNS_24const_host_device_scalarIT7_EEPKT2_PKS2_PKT4_PKT5_llS5_PT6_ll16rocsparse_order_21rocsparse_index_base_b,@function
_ZN9rocsparseL29bsrmmnt_small_blockdim_kernelILj64ELj8ELj2EllddddEEv20rocsparse_direction_T3_S2_llNS_24const_host_device_scalarIT7_EEPKT2_PKS2_PKT4_PKT5_llS5_PT6_ll16rocsparse_order_21rocsparse_index_base_b: ; @_ZN9rocsparseL29bsrmmnt_small_blockdim_kernelILj64ELj8ELj2EllddddEEv20rocsparse_direction_T3_S2_llNS_24const_host_device_scalarIT7_EEPKT2_PKS2_PKT4_PKT5_llS5_PT6_ll16rocsparse_order_21rocsparse_index_base_b
; %bb.0:
	s_load_dwordx4 s[24:27], s[4:5], 0x80
	s_load_dwordx2 s[8:9], s[4:5], 0x28
	s_load_dwordx2 s[0:1], s[4:5], 0x60
	s_waitcnt lgkmcnt(0)
	s_bitcmp1_b32 s26, 0
	s_cselect_b64 s[10:11], -1, 0
	v_mov_b32_e32 v1, s8
	s_xor_b64 s[2:3], s[10:11], -1
	s_and_b64 vcc, exec, s[10:11]
	v_mov_b32_e32 v2, s9
	s_cbranch_vccnz .LBB41_2
; %bb.1:
	v_mov_b32_e32 v1, s8
	v_mov_b32_e32 v2, s9
	flat_load_dwordx2 v[1:2], v[1:2]
.LBB41_2:
	v_mov_b32_e32 v4, s1
	s_andn2_b64 vcc, exec, s[2:3]
	v_mov_b32_e32 v3, s0
	s_cbranch_vccnz .LBB41_4
; %bb.3:
	v_mov_b32_e32 v4, s1
	v_mov_b32_e32 v3, s0
	flat_load_dwordx2 v[3:4], v[3:4]
.LBB41_4:
	s_waitcnt vmcnt(0) lgkmcnt(0)
	v_cmp_neq_f64_e32 vcc, 0, v[1:2]
	v_cmp_neq_f64_e64 s[0:1], 1.0, v[3:4]
	s_or_b64 s[0:1], vcc, s[0:1]
	s_and_saveexec_b64 s[2:3], s[0:1]
	s_cbranch_execz .LBB41_29
; %bb.5:
	s_load_dword s0, s[4:5], 0x9c
	s_load_dwordx4 s[16:19], s[4:5], 0x8
	v_mov_b32_e32 v6, 0
	s_waitcnt lgkmcnt(0)
	s_and_b32 s0, s0, 0xffff
	s_mul_i32 s6, s6, s0
	v_add_u32_e32 v7, s6, v0
	v_lshrrev_b32_e32 v5, 4, v7
	v_cmp_gt_i64_e32 vcc, s[16:17], v[5:6]
	s_and_b64 exec, exec, vcc
	s_cbranch_execz .LBB41_29
; %bb.6:
	v_cmp_lt_i64_e64 s[0:1], s[18:19], 1
	s_and_b64 vcc, exec, s[0:1]
	s_cbranch_vccnz .LBB41_29
; %bb.7:
	s_load_dwordx8 s[8:15], s[4:5], 0x30
	v_lshlrev_b32_e32 v5, 3, v5
	v_and_b32_e32 v13, 8, v7
	v_lshrrev_b32_e32 v8, 3, v7
	v_and_b32_e32 v7, -8, v7
	s_waitcnt lgkmcnt(0)
	global_load_dwordx4 v[9:12], v5, s[8:9]
	s_load_dword s2, s[4:5], 0x0
	s_load_dwordx4 s[20:23], s[4:5], 0x68
	s_load_dwordx2 s[6:7], s[4:5], 0x50
	v_mov_b32_e32 v15, s13
	v_add_co_u32_e32 v18, vcc, s12, v13
	v_addc_co_u32_e32 v15, vcc, 0, v15, vcc
	v_and_b32_e32 v23, 7, v0
	v_lshrrev_b32_e32 v5, 3, v0
	v_mov_b32_e32 v0, 0x600
	s_cmp_lg_u32 s24, 1
	s_waitcnt lgkmcnt(0)
	v_mov_b32_e32 v17, s21
	v_add_co_u32_e32 v26, vcc, s20, v7
	v_lshl_or_b32 v0, v5, 6, v0
	s_cselect_b64 s[16:17], -1, 0
	v_mul_u32_u24_e32 v24, 0xc0, v5
	s_cmp_eq_u32 s2, 0
	v_mad_u64_u32 v[5:6], s[2:3], v8, s22, 0
	v_addc_co_u32_e32 v27, vcc, 0, v17, vcc
	v_add_co_u32_e32 v13, vcc, v18, v13
	v_addc_co_u32_e32 v7, vcc, 0, v15, vcc
	s_cselect_b64 vcc, -1, 0
	v_cndmask_b32_e32 v28, v15, v7, vcc
	v_mad_u64_u32 v[6:7], s[2:3], v8, s23, v[6:7]
	v_cmp_neq_f64_e64 s[0:1], 0, v[3:4]
	v_mov_b32_e32 v16, s21
	v_lshlrev_b64 v[5:6], 3, v[5:6]
	v_cndmask_b32_e32 v29, v18, v13, vcc
	s_and_b64 s[2:3], vcc, exec
	v_add_co_u32_e32 v30, vcc, s20, v5
	v_addc_co_u32_e32 v31, vcc, v16, v6, vcc
	v_mul_u32_u24_e32 v14, 24, v23
	s_mov_b32 s28, s25
	s_mov_b64 s[8:9], 0
	v_lshl_or_b32 v25, v23, 3, v0
	s_cselect_b32 s29, 8, 16
	v_add_u32_e32 v32, v24, v14
	s_lshl_b64 s[12:13], s[6:7], 3
	s_waitcnt vmcnt(0)
	v_subrev_co_u32_e32 v5, vcc, s25, v9
	v_subbrev_co_u32_e32 v6, vcc, 0, v10, vcc
	v_subrev_co_u32_e32 v7, vcc, s25, v11
	v_cmp_lt_i64_e64 s[2:3], v[9:10], v[11:12]
	v_subbrev_co_u32_e32 v8, vcc, 0, v12, vcc
	s_branch .LBB41_9
.LBB41_8:                               ;   in Loop: Header=BB41_9 Depth=1
	s_or_b64 exec, exec, s[4:5]
	s_add_u32 s8, s8, 8
	v_mov_b32_e32 v9, s18
	s_addc_u32 s9, s9, 0
	v_mov_b32_e32 v10, s19
	v_cmp_lt_i64_e32 vcc, s[8:9], v[9:10]
	s_cbranch_vccz .LBB41_29
.LBB41_9:                               ; =>This Loop Header: Depth=1
                                        ;     Child Loop BB41_12 Depth 2
                                        ;       Child Loop BB41_16 Depth 3
	v_mov_b32_e32 v11, 0
	v_mov_b32_e32 v10, s9
	;; [unrolled: 1-line block ×3, first 2 shown]
	v_or_b32_e32 v9, s8, v23
	s_and_saveexec_b64 s[20:21], s[2:3]
	s_cbranch_execz .LBB41_18
; %bb.10:                               ;   in Loop: Header=BB41_9 Depth=1
	v_lshlrev_b64 v[11:12], 3, v[9:10]
	v_mov_b32_e32 v13, s15
	v_add_co_u32_e64 v33, s[4:5], s14, v11
	v_cmp_gt_i64_e32 vcc, s[18:19], v[9:10]
	v_addc_co_u32_e64 v34, s[4:5], v13, v12, s[4:5]
	v_mov_b32_e32 v11, 0
	v_mov_b32_e32 v14, v6
	;; [unrolled: 1-line block ×3, first 2 shown]
	s_mov_b64 s[24:25], 0
	v_mov_b32_e32 v13, v5
	s_branch .LBB41_12
.LBB41_11:                              ;   in Loop: Header=BB41_12 Depth=2
	s_or_b64 exec, exec, s[26:27]
	v_add_co_u32_e64 v13, s[4:5], 8, v13
	v_addc_co_u32_e64 v14, s[4:5], 0, v14, s[4:5]
	v_cmp_ge_i64_e64 s[4:5], v[13:14], v[7:8]
	s_or_b64 s[24:25], s[4:5], s[24:25]
	s_andn2_b64 exec, exec, s[24:25]
	s_cbranch_execz .LBB41_17
.LBB41_12:                              ;   Parent Loop BB41_9 Depth=1
                                        ; =>  This Loop Header: Depth=2
                                        ;       Child Loop BB41_16 Depth 3
	v_add_co_u32_e64 v17, s[4:5], v13, v23
	v_addc_co_u32_e64 v18, s[4:5], 0, v14, s[4:5]
	v_cmp_lt_i64_e64 s[4:5], v[17:18], v[7:8]
	v_mov_b32_e32 v21, 0
	v_mov_b32_e32 v15, 0
	;; [unrolled: 1-line block ×6, first 2 shown]
	s_and_saveexec_b64 s[26:27], s[4:5]
	s_cbranch_execz .LBB41_14
; %bb.13:                               ;   in Loop: Header=BB41_12 Depth=2
	v_lshlrev_b64 v[15:16], 3, v[17:18]
	v_mov_b32_e32 v19, s11
	v_add_co_u32_e64 v15, s[4:5], s10, v15
	v_addc_co_u32_e64 v16, s[4:5], v19, v16, s[4:5]
	global_load_dwordx2 v[21:22], v[15:16], off
	v_lshlrev_b64 v[15:16], 5, v[17:18]
	v_add_co_u32_e64 v17, s[4:5], v29, v15
	v_addc_co_u32_e64 v18, s[4:5], v28, v16, s[4:5]
	v_add_co_u32_e64 v35, s[4:5], s29, v17
	v_addc_co_u32_e64 v36, s[4:5], 0, v18, s[4:5]
	global_load_dwordx2 v[15:16], v[17:18], off
	global_load_dwordx2 v[19:20], v[35:36], off
	s_waitcnt vmcnt(2)
	v_subrev_co_u32_e64 v17, s[4:5], s28, v21
	v_subbrev_co_u32_e64 v18, s[4:5], 0, v22, s[4:5]
	v_lshlrev_b64 v[21:22], 1, v[17:18]
.LBB41_14:                              ;   in Loop: Header=BB41_12 Depth=2
	s_or_b64 exec, exec, s[26:27]
	ds_write_b64 v25, v[21:22]
	s_waitcnt vmcnt(0)
	ds_write2_b64 v32, v[15:16], v[19:20] offset1:1
	s_waitcnt lgkmcnt(0)
	; wave barrier
	s_and_saveexec_b64 s[26:27], vcc
	s_cbranch_execz .LBB41_11
; %bb.15:                               ;   in Loop: Header=BB41_12 Depth=2
	s_mov_b32 s30, 0
	v_mov_b32_e32 v15, v24
.LBB41_16:                              ;   Parent Loop BB41_9 Depth=1
                                        ;     Parent Loop BB41_12 Depth=2
                                        ; =>    This Inner Loop Header: Depth=3
	v_add_u32_e32 v16, s30, v0
	ds_read_b128 v[16:19], v16
	v_mov_b32_e32 v22, s13
	s_add_i32 s30, s30, 16
	s_cmp_lg_u32 s30, 64
	s_waitcnt lgkmcnt(0)
	v_mul_lo_u32 v20, v17, s6
	v_mul_lo_u32 v21, v16, s7
	v_mad_u64_u32 v[16:17], s[4:5], v16, s6, 0
	v_mul_lo_u32 v35, v19, s6
	v_mul_lo_u32 v36, v18, s7
	v_add3_u32 v17, v17, v21, v20
	v_lshlrev_b64 v[16:17], 3, v[16:17]
	v_add_co_u32_e64 v16, s[4:5], v33, v16
	v_addc_co_u32_e64 v17, s[4:5], v34, v17, s[4:5]
	global_load_dwordx2 v[20:21], v[16:17], off
	v_mad_u64_u32 v[18:19], s[4:5], v18, s6, 0
	v_add_co_u32_e64 v16, s[4:5], s12, v16
	v_addc_co_u32_e64 v17, s[4:5], v17, v22, s[4:5]
	global_load_dwordx2 v[39:40], v[16:17], off
	v_add3_u32 v19, v19, v36, v35
	v_lshlrev_b64 v[16:17], 3, v[18:19]
	v_add_co_u32_e64 v16, s[4:5], v33, v16
	v_addc_co_u32_e64 v17, s[4:5], v34, v17, s[4:5]
	global_load_dwordx2 v[41:42], v[16:17], off
	v_add_co_u32_e64 v16, s[4:5], s12, v16
	v_addc_co_u32_e64 v17, s[4:5], v17, v22, s[4:5]
	global_load_dwordx2 v[43:44], v[16:17], off
	ds_read_b128 v[16:19], v15
	ds_read2_b64 v[35:38], v15 offset0:3 offset1:4
	v_add_u32_e32 v15, 48, v15
	s_waitcnt vmcnt(3) lgkmcnt(1)
	v_fma_f64 v[11:12], v[16:17], v[20:21], v[11:12]
	s_waitcnt vmcnt(2)
	v_fma_f64 v[11:12], v[18:19], v[39:40], v[11:12]
	s_waitcnt vmcnt(1) lgkmcnt(0)
	v_fma_f64 v[11:12], v[35:36], v[41:42], v[11:12]
	s_waitcnt vmcnt(0)
	v_fma_f64 v[11:12], v[37:38], v[43:44], v[11:12]
	s_cbranch_scc1 .LBB41_16
	s_branch .LBB41_11
.LBB41_17:                              ;   in Loop: Header=BB41_9 Depth=1
	s_or_b64 exec, exec, s[24:25]
.LBB41_18:                              ;   in Loop: Header=BB41_9 Depth=1
	s_or_b64 exec, exec, s[20:21]
	v_cmp_gt_i64_e32 vcc, s[18:19], v[9:10]
	s_and_saveexec_b64 s[4:5], vcc
	s_cbranch_execz .LBB41_8
; %bb.19:                               ;   in Loop: Header=BB41_9 Depth=1
	s_and_saveexec_b64 s[20:21], s[0:1]
	s_xor_b64 s[20:21], exec, s[20:21]
	s_cbranch_execz .LBB41_24
; %bb.20:                               ;   in Loop: Header=BB41_9 Depth=1
	s_mov_b64 s[24:25], -1
	s_and_b64 vcc, exec, s[16:17]
	s_cbranch_vccz .LBB41_22
; %bb.21:                               ;   in Loop: Header=BB41_9 Depth=1
	v_lshlrev_b64 v[13:14], 3, v[9:10]
	v_mul_f64 v[17:18], v[1:2], v[11:12]
	v_add_co_u32_e32 v13, vcc, v30, v13
	v_addc_co_u32_e32 v14, vcc, v31, v14, vcc
	global_load_dwordx2 v[15:16], v[13:14], off
	s_mov_b64 s[24:25], 0
	s_waitcnt vmcnt(0)
	v_fma_f64 v[15:16], v[3:4], v[15:16], v[17:18]
	global_store_dwordx2 v[13:14], v[15:16], off
.LBB41_22:                              ;   in Loop: Header=BB41_9 Depth=1
	s_andn2_b64 vcc, exec, s[24:25]
	s_cbranch_vccnz .LBB41_24
; %bb.23:                               ;   in Loop: Header=BB41_9 Depth=1
	v_mul_lo_u32 v13, v10, s22
	v_mul_lo_u32 v14, v9, s23
	v_mad_u64_u32 v[9:10], s[24:25], v9, s22, 0
	v_mul_f64 v[11:12], v[1:2], v[11:12]
	v_add3_u32 v10, v10, v14, v13
	v_lshlrev_b64 v[9:10], 3, v[9:10]
	v_add_co_u32_e32 v9, vcc, v26, v9
	v_addc_co_u32_e32 v10, vcc, v27, v10, vcc
	global_load_dwordx2 v[13:14], v[9:10], off
	s_waitcnt vmcnt(0)
	v_fma_f64 v[11:12], v[3:4], v[13:14], v[11:12]
	global_store_dwordx2 v[9:10], v[11:12], off
                                        ; implicit-def: $vgpr9_vgpr10
                                        ; implicit-def: $vgpr11_vgpr12
.LBB41_24:                              ;   in Loop: Header=BB41_9 Depth=1
	s_andn2_saveexec_b64 s[20:21], s[20:21]
	s_cbranch_execz .LBB41_8
; %bb.25:                               ;   in Loop: Header=BB41_9 Depth=1
	v_mul_f64 v[11:12], v[1:2], v[11:12]
	s_mov_b64 s[20:21], -1
	s_and_b64 vcc, exec, s[16:17]
	s_cbranch_vccz .LBB41_27
; %bb.26:                               ;   in Loop: Header=BB41_9 Depth=1
	v_lshlrev_b64 v[13:14], 3, v[9:10]
	s_mov_b64 s[20:21], 0
	v_add_co_u32_e32 v13, vcc, v30, v13
	v_addc_co_u32_e32 v14, vcc, v31, v14, vcc
	global_store_dwordx2 v[13:14], v[11:12], off
.LBB41_27:                              ;   in Loop: Header=BB41_9 Depth=1
	s_andn2_b64 vcc, exec, s[20:21]
	s_cbranch_vccnz .LBB41_8
; %bb.28:                               ;   in Loop: Header=BB41_9 Depth=1
	v_mul_lo_u32 v13, v10, s22
	v_mul_lo_u32 v14, v9, s23
	v_mad_u64_u32 v[9:10], s[20:21], v9, s22, 0
	v_add3_u32 v10, v10, v14, v13
	v_lshlrev_b64 v[9:10], 3, v[9:10]
	v_add_co_u32_e32 v9, vcc, v26, v9
	v_addc_co_u32_e32 v10, vcc, v27, v10, vcc
	global_store_dwordx2 v[9:10], v[11:12], off
	s_branch .LBB41_8
.LBB41_29:
	s_endpgm
	.section	.rodata,"a",@progbits
	.p2align	6, 0x0
	.amdhsa_kernel _ZN9rocsparseL29bsrmmnt_small_blockdim_kernelILj64ELj8ELj2EllddddEEv20rocsparse_direction_T3_S2_llNS_24const_host_device_scalarIT7_EEPKT2_PKS2_PKT4_PKT5_llS5_PT6_ll16rocsparse_order_21rocsparse_index_base_b
		.amdhsa_group_segment_fixed_size 2048
		.amdhsa_private_segment_fixed_size 0
		.amdhsa_kernarg_size 400
		.amdhsa_user_sgpr_count 6
		.amdhsa_user_sgpr_private_segment_buffer 1
		.amdhsa_user_sgpr_dispatch_ptr 0
		.amdhsa_user_sgpr_queue_ptr 0
		.amdhsa_user_sgpr_kernarg_segment_ptr 1
		.amdhsa_user_sgpr_dispatch_id 0
		.amdhsa_user_sgpr_flat_scratch_init 0
		.amdhsa_user_sgpr_private_segment_size 0
		.amdhsa_uses_dynamic_stack 0
		.amdhsa_system_sgpr_private_segment_wavefront_offset 0
		.amdhsa_system_sgpr_workgroup_id_x 1
		.amdhsa_system_sgpr_workgroup_id_y 0
		.amdhsa_system_sgpr_workgroup_id_z 0
		.amdhsa_system_sgpr_workgroup_info 0
		.amdhsa_system_vgpr_workitem_id 0
		.amdhsa_next_free_vgpr 45
		.amdhsa_next_free_sgpr 61
		.amdhsa_reserve_vcc 1
		.amdhsa_reserve_flat_scratch 0
		.amdhsa_float_round_mode_32 0
		.amdhsa_float_round_mode_16_64 0
		.amdhsa_float_denorm_mode_32 3
		.amdhsa_float_denorm_mode_16_64 3
		.amdhsa_dx10_clamp 1
		.amdhsa_ieee_mode 1
		.amdhsa_fp16_overflow 0
		.amdhsa_exception_fp_ieee_invalid_op 0
		.amdhsa_exception_fp_denorm_src 0
		.amdhsa_exception_fp_ieee_div_zero 0
		.amdhsa_exception_fp_ieee_overflow 0
		.amdhsa_exception_fp_ieee_underflow 0
		.amdhsa_exception_fp_ieee_inexact 0
		.amdhsa_exception_int_div_zero 0
	.end_amdhsa_kernel
	.section	.text._ZN9rocsparseL29bsrmmnt_small_blockdim_kernelILj64ELj8ELj2EllddddEEv20rocsparse_direction_T3_S2_llNS_24const_host_device_scalarIT7_EEPKT2_PKS2_PKT4_PKT5_llS5_PT6_ll16rocsparse_order_21rocsparse_index_base_b,"axG",@progbits,_ZN9rocsparseL29bsrmmnt_small_blockdim_kernelILj64ELj8ELj2EllddddEEv20rocsparse_direction_T3_S2_llNS_24const_host_device_scalarIT7_EEPKT2_PKS2_PKT4_PKT5_llS5_PT6_ll16rocsparse_order_21rocsparse_index_base_b,comdat
.Lfunc_end41:
	.size	_ZN9rocsparseL29bsrmmnt_small_blockdim_kernelILj64ELj8ELj2EllddddEEv20rocsparse_direction_T3_S2_llNS_24const_host_device_scalarIT7_EEPKT2_PKS2_PKT4_PKT5_llS5_PT6_ll16rocsparse_order_21rocsparse_index_base_b, .Lfunc_end41-_ZN9rocsparseL29bsrmmnt_small_blockdim_kernelILj64ELj8ELj2EllddddEEv20rocsparse_direction_T3_S2_llNS_24const_host_device_scalarIT7_EEPKT2_PKS2_PKT4_PKT5_llS5_PT6_ll16rocsparse_order_21rocsparse_index_base_b
                                        ; -- End function
	.set _ZN9rocsparseL29bsrmmnt_small_blockdim_kernelILj64ELj8ELj2EllddddEEv20rocsparse_direction_T3_S2_llNS_24const_host_device_scalarIT7_EEPKT2_PKS2_PKT4_PKT5_llS5_PT6_ll16rocsparse_order_21rocsparse_index_base_b.num_vgpr, 45
	.set _ZN9rocsparseL29bsrmmnt_small_blockdim_kernelILj64ELj8ELj2EllddddEEv20rocsparse_direction_T3_S2_llNS_24const_host_device_scalarIT7_EEPKT2_PKS2_PKT4_PKT5_llS5_PT6_ll16rocsparse_order_21rocsparse_index_base_b.num_agpr, 0
	.set _ZN9rocsparseL29bsrmmnt_small_blockdim_kernelILj64ELj8ELj2EllddddEEv20rocsparse_direction_T3_S2_llNS_24const_host_device_scalarIT7_EEPKT2_PKS2_PKT4_PKT5_llS5_PT6_ll16rocsparse_order_21rocsparse_index_base_b.numbered_sgpr, 31
	.set _ZN9rocsparseL29bsrmmnt_small_blockdim_kernelILj64ELj8ELj2EllddddEEv20rocsparse_direction_T3_S2_llNS_24const_host_device_scalarIT7_EEPKT2_PKS2_PKT4_PKT5_llS5_PT6_ll16rocsparse_order_21rocsparse_index_base_b.num_named_barrier, 0
	.set _ZN9rocsparseL29bsrmmnt_small_blockdim_kernelILj64ELj8ELj2EllddddEEv20rocsparse_direction_T3_S2_llNS_24const_host_device_scalarIT7_EEPKT2_PKS2_PKT4_PKT5_llS5_PT6_ll16rocsparse_order_21rocsparse_index_base_b.private_seg_size, 0
	.set _ZN9rocsparseL29bsrmmnt_small_blockdim_kernelILj64ELj8ELj2EllddddEEv20rocsparse_direction_T3_S2_llNS_24const_host_device_scalarIT7_EEPKT2_PKS2_PKT4_PKT5_llS5_PT6_ll16rocsparse_order_21rocsparse_index_base_b.uses_vcc, 1
	.set _ZN9rocsparseL29bsrmmnt_small_blockdim_kernelILj64ELj8ELj2EllddddEEv20rocsparse_direction_T3_S2_llNS_24const_host_device_scalarIT7_EEPKT2_PKS2_PKT4_PKT5_llS5_PT6_ll16rocsparse_order_21rocsparse_index_base_b.uses_flat_scratch, 0
	.set _ZN9rocsparseL29bsrmmnt_small_blockdim_kernelILj64ELj8ELj2EllddddEEv20rocsparse_direction_T3_S2_llNS_24const_host_device_scalarIT7_EEPKT2_PKS2_PKT4_PKT5_llS5_PT6_ll16rocsparse_order_21rocsparse_index_base_b.has_dyn_sized_stack, 0
	.set _ZN9rocsparseL29bsrmmnt_small_blockdim_kernelILj64ELj8ELj2EllddddEEv20rocsparse_direction_T3_S2_llNS_24const_host_device_scalarIT7_EEPKT2_PKS2_PKT4_PKT5_llS5_PT6_ll16rocsparse_order_21rocsparse_index_base_b.has_recursion, 0
	.set _ZN9rocsparseL29bsrmmnt_small_blockdim_kernelILj64ELj8ELj2EllddddEEv20rocsparse_direction_T3_S2_llNS_24const_host_device_scalarIT7_EEPKT2_PKS2_PKT4_PKT5_llS5_PT6_ll16rocsparse_order_21rocsparse_index_base_b.has_indirect_call, 0
	.section	.AMDGPU.csdata,"",@progbits
; Kernel info:
; codeLenInByte = 1436
; TotalNumSgprs: 35
; NumVgprs: 45
; ScratchSize: 0
; MemoryBound: 0
; FloatMode: 240
; IeeeMode: 1
; LDSByteSize: 2048 bytes/workgroup (compile time only)
; SGPRBlocks: 8
; VGPRBlocks: 11
; NumSGPRsForWavesPerEU: 65
; NumVGPRsForWavesPerEU: 45
; Occupancy: 5
; WaveLimiterHint : 1
; COMPUTE_PGM_RSRC2:SCRATCH_EN: 0
; COMPUTE_PGM_RSRC2:USER_SGPR: 6
; COMPUTE_PGM_RSRC2:TRAP_HANDLER: 0
; COMPUTE_PGM_RSRC2:TGID_X_EN: 1
; COMPUTE_PGM_RSRC2:TGID_Y_EN: 0
; COMPUTE_PGM_RSRC2:TGID_Z_EN: 0
; COMPUTE_PGM_RSRC2:TIDIG_COMP_CNT: 0
	.section	.text._ZN9rocsparseL29bsrmmnt_small_blockdim_kernelILj64ELj16ELj2EllddddEEv20rocsparse_direction_T3_S2_llNS_24const_host_device_scalarIT7_EEPKT2_PKS2_PKT4_PKT5_llS5_PT6_ll16rocsparse_order_21rocsparse_index_base_b,"axG",@progbits,_ZN9rocsparseL29bsrmmnt_small_blockdim_kernelILj64ELj16ELj2EllddddEEv20rocsparse_direction_T3_S2_llNS_24const_host_device_scalarIT7_EEPKT2_PKS2_PKT4_PKT5_llS5_PT6_ll16rocsparse_order_21rocsparse_index_base_b,comdat
	.globl	_ZN9rocsparseL29bsrmmnt_small_blockdim_kernelILj64ELj16ELj2EllddddEEv20rocsparse_direction_T3_S2_llNS_24const_host_device_scalarIT7_EEPKT2_PKS2_PKT4_PKT5_llS5_PT6_ll16rocsparse_order_21rocsparse_index_base_b ; -- Begin function _ZN9rocsparseL29bsrmmnt_small_blockdim_kernelILj64ELj16ELj2EllddddEEv20rocsparse_direction_T3_S2_llNS_24const_host_device_scalarIT7_EEPKT2_PKS2_PKT4_PKT5_llS5_PT6_ll16rocsparse_order_21rocsparse_index_base_b
	.p2align	8
	.type	_ZN9rocsparseL29bsrmmnt_small_blockdim_kernelILj64ELj16ELj2EllddddEEv20rocsparse_direction_T3_S2_llNS_24const_host_device_scalarIT7_EEPKT2_PKS2_PKT4_PKT5_llS5_PT6_ll16rocsparse_order_21rocsparse_index_base_b,@function
_ZN9rocsparseL29bsrmmnt_small_blockdim_kernelILj64ELj16ELj2EllddddEEv20rocsparse_direction_T3_S2_llNS_24const_host_device_scalarIT7_EEPKT2_PKS2_PKT4_PKT5_llS5_PT6_ll16rocsparse_order_21rocsparse_index_base_b: ; @_ZN9rocsparseL29bsrmmnt_small_blockdim_kernelILj64ELj16ELj2EllddddEEv20rocsparse_direction_T3_S2_llNS_24const_host_device_scalarIT7_EEPKT2_PKS2_PKT4_PKT5_llS5_PT6_ll16rocsparse_order_21rocsparse_index_base_b
; %bb.0:
	s_load_dwordx4 s[24:27], s[4:5], 0x80
	s_load_dwordx2 s[8:9], s[4:5], 0x28
	s_load_dwordx2 s[0:1], s[4:5], 0x60
	s_waitcnt lgkmcnt(0)
	s_bitcmp1_b32 s26, 0
	s_cselect_b64 s[10:11], -1, 0
	v_mov_b32_e32 v1, s8
	s_xor_b64 s[2:3], s[10:11], -1
	s_and_b64 vcc, exec, s[10:11]
	v_mov_b32_e32 v2, s9
	s_cbranch_vccnz .LBB42_2
; %bb.1:
	v_mov_b32_e32 v1, s8
	v_mov_b32_e32 v2, s9
	flat_load_dwordx2 v[1:2], v[1:2]
.LBB42_2:
	v_mov_b32_e32 v4, s1
	s_andn2_b64 vcc, exec, s[2:3]
	v_mov_b32_e32 v3, s0
	s_cbranch_vccnz .LBB42_4
; %bb.3:
	v_mov_b32_e32 v4, s1
	v_mov_b32_e32 v3, s0
	flat_load_dwordx2 v[3:4], v[3:4]
.LBB42_4:
	s_waitcnt vmcnt(0) lgkmcnt(0)
	v_cmp_neq_f64_e32 vcc, 0, v[1:2]
	v_cmp_neq_f64_e64 s[0:1], 1.0, v[3:4]
	s_or_b64 s[0:1], vcc, s[0:1]
	s_and_saveexec_b64 s[2:3], s[0:1]
	s_cbranch_execz .LBB42_29
; %bb.5:
	s_load_dword s0, s[4:5], 0x9c
	s_load_dwordx4 s[16:19], s[4:5], 0x8
	v_mov_b32_e32 v6, 0
	s_waitcnt lgkmcnt(0)
	s_and_b32 s0, s0, 0xffff
	s_mul_i32 s6, s6, s0
	v_add_u32_e32 v7, s6, v0
	v_lshrrev_b32_e32 v5, 5, v7
	v_cmp_gt_i64_e32 vcc, s[16:17], v[5:6]
	s_and_b64 exec, exec, vcc
	s_cbranch_execz .LBB42_29
; %bb.6:
	v_cmp_lt_i64_e64 s[0:1], s[18:19], 1
	s_and_b64 vcc, exec, s[0:1]
	s_cbranch_vccnz .LBB42_29
; %bb.7:
	s_load_dwordx8 s[8:15], s[4:5], 0x30
	v_lshlrev_b32_e32 v5, 3, v5
	v_lshrrev_b32_e32 v7, 4, v7
	v_and_b32_e32 v23, 15, v0
	s_cmp_lg_u32 s24, 1
	s_waitcnt lgkmcnt(0)
	global_load_dwordx4 v[9:12], v5, s[8:9]
	s_load_dword s2, s[4:5], 0x0
	s_load_dwordx4 s[20:23], s[4:5], 0x68
	s_load_dwordx2 s[6:7], s[4:5], 0x50
	v_lshrrev_b32_e32 v5, 4, v0
	v_mov_b32_e32 v0, 0x600
	v_lshl_or_b32 v0, v5, 7, v0
	s_cselect_b64 s[16:17], -1, 0
	v_mul_u32_u24_e32 v24, 0x180, v5
	s_waitcnt lgkmcnt(0)
	s_cmp_eq_u32 s2, 0
	v_mad_u64_u32 v[5:6], s[2:3], v7, s22, 0
	v_lshlrev_b32_e32 v8, 3, v7
	v_and_b32_e32 v14, 8, v8
	v_mov_b32_e32 v15, s13
	v_add_co_u32_e32 v18, vcc, s12, v14
	v_addc_co_u32_e32 v15, vcc, 0, v15, vcc
	v_mad_u64_u32 v[6:7], s[2:3], v7, s23, v[6:7]
	v_mov_b32_e32 v17, s21
	v_add_co_u32_e32 v26, vcc, s20, v8
	v_addc_co_u32_e32 v27, vcc, 0, v17, vcc
	v_add_co_u32_e32 v8, vcc, v18, v14
	v_cmp_neq_f64_e64 s[0:1], 0, v[3:4]
	v_addc_co_u32_e32 v14, vcc, 0, v15, vcc
	v_lshlrev_b64 v[5:6], 3, v[5:6]
	s_cselect_b64 vcc, -1, 0
	v_mov_b32_e32 v16, s21
	v_cndmask_b32_e32 v28, v15, v14, vcc
	v_cndmask_b32_e32 v29, v18, v8, vcc
	s_and_b64 s[2:3], vcc, exec
	v_add_co_u32_e32 v30, vcc, s20, v5
	v_addc_co_u32_e32 v31, vcc, v16, v6, vcc
	v_mul_u32_u24_e32 v13, 24, v23
	s_mov_b32 s28, s25
	s_mov_b64 s[8:9], 0
	v_lshl_or_b32 v25, v23, 3, v0
	s_cselect_b32 s29, 8, 16
	v_add_u32_e32 v32, v24, v13
	s_lshl_b64 s[12:13], s[6:7], 3
	s_waitcnt vmcnt(0)
	v_subrev_co_u32_e32 v5, vcc, s25, v9
	v_subbrev_co_u32_e32 v6, vcc, 0, v10, vcc
	v_subrev_co_u32_e32 v7, vcc, s25, v11
	v_cmp_lt_i64_e64 s[2:3], v[9:10], v[11:12]
	v_subbrev_co_u32_e32 v8, vcc, 0, v12, vcc
	s_branch .LBB42_9
.LBB42_8:                               ;   in Loop: Header=BB42_9 Depth=1
	s_or_b64 exec, exec, s[4:5]
	s_add_u32 s8, s8, 16
	v_mov_b32_e32 v9, s18
	s_addc_u32 s9, s9, 0
	v_mov_b32_e32 v10, s19
	v_cmp_lt_i64_e32 vcc, s[8:9], v[9:10]
	s_cbranch_vccz .LBB42_29
.LBB42_9:                               ; =>This Loop Header: Depth=1
                                        ;     Child Loop BB42_12 Depth 2
                                        ;       Child Loop BB42_16 Depth 3
	v_mov_b32_e32 v11, 0
	v_mov_b32_e32 v10, s9
	;; [unrolled: 1-line block ×3, first 2 shown]
	v_or_b32_e32 v9, s8, v23
	s_and_saveexec_b64 s[20:21], s[2:3]
	s_cbranch_execz .LBB42_18
; %bb.10:                               ;   in Loop: Header=BB42_9 Depth=1
	v_lshlrev_b64 v[11:12], 3, v[9:10]
	v_mov_b32_e32 v13, s15
	v_add_co_u32_e64 v33, s[4:5], s14, v11
	v_cmp_gt_i64_e32 vcc, s[18:19], v[9:10]
	v_addc_co_u32_e64 v34, s[4:5], v13, v12, s[4:5]
	v_mov_b32_e32 v11, 0
	v_mov_b32_e32 v14, v6
	;; [unrolled: 1-line block ×3, first 2 shown]
	s_mov_b64 s[24:25], 0
	v_mov_b32_e32 v13, v5
	s_branch .LBB42_12
.LBB42_11:                              ;   in Loop: Header=BB42_12 Depth=2
	s_or_b64 exec, exec, s[26:27]
	v_add_co_u32_e64 v13, s[4:5], 16, v13
	v_addc_co_u32_e64 v14, s[4:5], 0, v14, s[4:5]
	v_cmp_ge_i64_e64 s[4:5], v[13:14], v[7:8]
	s_or_b64 s[24:25], s[4:5], s[24:25]
	s_andn2_b64 exec, exec, s[24:25]
	s_cbranch_execz .LBB42_17
.LBB42_12:                              ;   Parent Loop BB42_9 Depth=1
                                        ; =>  This Loop Header: Depth=2
                                        ;       Child Loop BB42_16 Depth 3
	v_add_co_u32_e64 v17, s[4:5], v13, v23
	v_addc_co_u32_e64 v18, s[4:5], 0, v14, s[4:5]
	v_cmp_lt_i64_e64 s[4:5], v[17:18], v[7:8]
	v_mov_b32_e32 v21, 0
	v_mov_b32_e32 v15, 0
	;; [unrolled: 1-line block ×6, first 2 shown]
	s_and_saveexec_b64 s[26:27], s[4:5]
	s_cbranch_execz .LBB42_14
; %bb.13:                               ;   in Loop: Header=BB42_12 Depth=2
	v_lshlrev_b64 v[15:16], 3, v[17:18]
	v_mov_b32_e32 v19, s11
	v_add_co_u32_e64 v15, s[4:5], s10, v15
	v_addc_co_u32_e64 v16, s[4:5], v19, v16, s[4:5]
	global_load_dwordx2 v[21:22], v[15:16], off
	v_lshlrev_b64 v[15:16], 5, v[17:18]
	v_add_co_u32_e64 v17, s[4:5], v29, v15
	v_addc_co_u32_e64 v18, s[4:5], v28, v16, s[4:5]
	v_add_co_u32_e64 v35, s[4:5], s29, v17
	v_addc_co_u32_e64 v36, s[4:5], 0, v18, s[4:5]
	global_load_dwordx2 v[15:16], v[17:18], off
	global_load_dwordx2 v[19:20], v[35:36], off
	s_waitcnt vmcnt(2)
	v_subrev_co_u32_e64 v17, s[4:5], s28, v21
	v_subbrev_co_u32_e64 v18, s[4:5], 0, v22, s[4:5]
	v_lshlrev_b64 v[21:22], 1, v[17:18]
.LBB42_14:                              ;   in Loop: Header=BB42_12 Depth=2
	s_or_b64 exec, exec, s[26:27]
	ds_write_b64 v25, v[21:22]
	s_waitcnt vmcnt(0)
	ds_write2_b64 v32, v[15:16], v[19:20] offset1:1
	s_waitcnt lgkmcnt(0)
	; wave barrier
	s_and_saveexec_b64 s[26:27], vcc
	s_cbranch_execz .LBB42_11
; %bb.15:                               ;   in Loop: Header=BB42_12 Depth=2
	s_mov_b32 s30, 0
	v_mov_b32_e32 v15, v24
.LBB42_16:                              ;   Parent Loop BB42_9 Depth=1
                                        ;     Parent Loop BB42_12 Depth=2
                                        ; =>    This Inner Loop Header: Depth=3
	v_add_u32_e32 v16, s30, v0
	ds_read_b128 v[16:19], v16
	v_mov_b32_e32 v22, s13
	s_add_i32 s30, s30, 16
	s_cmpk_lg_i32 s30, 0x80
	s_waitcnt lgkmcnt(0)
	v_mul_lo_u32 v20, v17, s6
	v_mul_lo_u32 v21, v16, s7
	v_mad_u64_u32 v[16:17], s[4:5], v16, s6, 0
	v_mul_lo_u32 v35, v19, s6
	v_mul_lo_u32 v36, v18, s7
	v_add3_u32 v17, v17, v21, v20
	v_lshlrev_b64 v[16:17], 3, v[16:17]
	v_add_co_u32_e64 v16, s[4:5], v33, v16
	v_addc_co_u32_e64 v17, s[4:5], v34, v17, s[4:5]
	global_load_dwordx2 v[20:21], v[16:17], off
	v_mad_u64_u32 v[18:19], s[4:5], v18, s6, 0
	v_add_co_u32_e64 v16, s[4:5], s12, v16
	v_addc_co_u32_e64 v17, s[4:5], v17, v22, s[4:5]
	global_load_dwordx2 v[39:40], v[16:17], off
	v_add3_u32 v19, v19, v36, v35
	v_lshlrev_b64 v[16:17], 3, v[18:19]
	v_add_co_u32_e64 v16, s[4:5], v33, v16
	v_addc_co_u32_e64 v17, s[4:5], v34, v17, s[4:5]
	global_load_dwordx2 v[41:42], v[16:17], off
	v_add_co_u32_e64 v16, s[4:5], s12, v16
	v_addc_co_u32_e64 v17, s[4:5], v17, v22, s[4:5]
	global_load_dwordx2 v[43:44], v[16:17], off
	ds_read_b128 v[16:19], v15
	ds_read2_b64 v[35:38], v15 offset0:3 offset1:4
	v_add_u32_e32 v15, 48, v15
	s_waitcnt vmcnt(3) lgkmcnt(1)
	v_fma_f64 v[11:12], v[16:17], v[20:21], v[11:12]
	s_waitcnt vmcnt(2)
	v_fma_f64 v[11:12], v[18:19], v[39:40], v[11:12]
	s_waitcnt vmcnt(1) lgkmcnt(0)
	v_fma_f64 v[11:12], v[35:36], v[41:42], v[11:12]
	s_waitcnt vmcnt(0)
	v_fma_f64 v[11:12], v[37:38], v[43:44], v[11:12]
	s_cbranch_scc1 .LBB42_16
	s_branch .LBB42_11
.LBB42_17:                              ;   in Loop: Header=BB42_9 Depth=1
	s_or_b64 exec, exec, s[24:25]
.LBB42_18:                              ;   in Loop: Header=BB42_9 Depth=1
	s_or_b64 exec, exec, s[20:21]
	v_cmp_gt_i64_e32 vcc, s[18:19], v[9:10]
	s_and_saveexec_b64 s[4:5], vcc
	s_cbranch_execz .LBB42_8
; %bb.19:                               ;   in Loop: Header=BB42_9 Depth=1
	s_and_saveexec_b64 s[20:21], s[0:1]
	s_xor_b64 s[20:21], exec, s[20:21]
	s_cbranch_execz .LBB42_24
; %bb.20:                               ;   in Loop: Header=BB42_9 Depth=1
	s_mov_b64 s[24:25], -1
	s_and_b64 vcc, exec, s[16:17]
	s_cbranch_vccz .LBB42_22
; %bb.21:                               ;   in Loop: Header=BB42_9 Depth=1
	v_lshlrev_b64 v[13:14], 3, v[9:10]
	v_mul_f64 v[17:18], v[1:2], v[11:12]
	v_add_co_u32_e32 v13, vcc, v30, v13
	v_addc_co_u32_e32 v14, vcc, v31, v14, vcc
	global_load_dwordx2 v[15:16], v[13:14], off
	s_mov_b64 s[24:25], 0
	s_waitcnt vmcnt(0)
	v_fma_f64 v[15:16], v[3:4], v[15:16], v[17:18]
	global_store_dwordx2 v[13:14], v[15:16], off
.LBB42_22:                              ;   in Loop: Header=BB42_9 Depth=1
	s_andn2_b64 vcc, exec, s[24:25]
	s_cbranch_vccnz .LBB42_24
; %bb.23:                               ;   in Loop: Header=BB42_9 Depth=1
	v_mul_lo_u32 v13, v10, s22
	v_mul_lo_u32 v14, v9, s23
	v_mad_u64_u32 v[9:10], s[24:25], v9, s22, 0
	v_mul_f64 v[11:12], v[1:2], v[11:12]
	v_add3_u32 v10, v10, v14, v13
	v_lshlrev_b64 v[9:10], 3, v[9:10]
	v_add_co_u32_e32 v9, vcc, v26, v9
	v_addc_co_u32_e32 v10, vcc, v27, v10, vcc
	global_load_dwordx2 v[13:14], v[9:10], off
	s_waitcnt vmcnt(0)
	v_fma_f64 v[11:12], v[3:4], v[13:14], v[11:12]
	global_store_dwordx2 v[9:10], v[11:12], off
                                        ; implicit-def: $vgpr9_vgpr10
                                        ; implicit-def: $vgpr11_vgpr12
.LBB42_24:                              ;   in Loop: Header=BB42_9 Depth=1
	s_andn2_saveexec_b64 s[20:21], s[20:21]
	s_cbranch_execz .LBB42_8
; %bb.25:                               ;   in Loop: Header=BB42_9 Depth=1
	v_mul_f64 v[11:12], v[1:2], v[11:12]
	s_mov_b64 s[20:21], -1
	s_and_b64 vcc, exec, s[16:17]
	s_cbranch_vccz .LBB42_27
; %bb.26:                               ;   in Loop: Header=BB42_9 Depth=1
	v_lshlrev_b64 v[13:14], 3, v[9:10]
	s_mov_b64 s[20:21], 0
	v_add_co_u32_e32 v13, vcc, v30, v13
	v_addc_co_u32_e32 v14, vcc, v31, v14, vcc
	global_store_dwordx2 v[13:14], v[11:12], off
.LBB42_27:                              ;   in Loop: Header=BB42_9 Depth=1
	s_andn2_b64 vcc, exec, s[20:21]
	s_cbranch_vccnz .LBB42_8
; %bb.28:                               ;   in Loop: Header=BB42_9 Depth=1
	v_mul_lo_u32 v13, v10, s22
	v_mul_lo_u32 v14, v9, s23
	v_mad_u64_u32 v[9:10], s[20:21], v9, s22, 0
	v_add3_u32 v10, v10, v14, v13
	v_lshlrev_b64 v[9:10], 3, v[9:10]
	v_add_co_u32_e32 v9, vcc, v26, v9
	v_addc_co_u32_e32 v10, vcc, v27, v10, vcc
	global_store_dwordx2 v[9:10], v[11:12], off
	s_branch .LBB42_8
.LBB42_29:
	s_endpgm
	.section	.rodata,"a",@progbits
	.p2align	6, 0x0
	.amdhsa_kernel _ZN9rocsparseL29bsrmmnt_small_blockdim_kernelILj64ELj16ELj2EllddddEEv20rocsparse_direction_T3_S2_llNS_24const_host_device_scalarIT7_EEPKT2_PKS2_PKT4_PKT5_llS5_PT6_ll16rocsparse_order_21rocsparse_index_base_b
		.amdhsa_group_segment_fixed_size 2048
		.amdhsa_private_segment_fixed_size 0
		.amdhsa_kernarg_size 400
		.amdhsa_user_sgpr_count 6
		.amdhsa_user_sgpr_private_segment_buffer 1
		.amdhsa_user_sgpr_dispatch_ptr 0
		.amdhsa_user_sgpr_queue_ptr 0
		.amdhsa_user_sgpr_kernarg_segment_ptr 1
		.amdhsa_user_sgpr_dispatch_id 0
		.amdhsa_user_sgpr_flat_scratch_init 0
		.amdhsa_user_sgpr_private_segment_size 0
		.amdhsa_uses_dynamic_stack 0
		.amdhsa_system_sgpr_private_segment_wavefront_offset 0
		.amdhsa_system_sgpr_workgroup_id_x 1
		.amdhsa_system_sgpr_workgroup_id_y 0
		.amdhsa_system_sgpr_workgroup_id_z 0
		.amdhsa_system_sgpr_workgroup_info 0
		.amdhsa_system_vgpr_workitem_id 0
		.amdhsa_next_free_vgpr 45
		.amdhsa_next_free_sgpr 61
		.amdhsa_reserve_vcc 1
		.amdhsa_reserve_flat_scratch 0
		.amdhsa_float_round_mode_32 0
		.amdhsa_float_round_mode_16_64 0
		.amdhsa_float_denorm_mode_32 3
		.amdhsa_float_denorm_mode_16_64 3
		.amdhsa_dx10_clamp 1
		.amdhsa_ieee_mode 1
		.amdhsa_fp16_overflow 0
		.amdhsa_exception_fp_ieee_invalid_op 0
		.amdhsa_exception_fp_denorm_src 0
		.amdhsa_exception_fp_ieee_div_zero 0
		.amdhsa_exception_fp_ieee_overflow 0
		.amdhsa_exception_fp_ieee_underflow 0
		.amdhsa_exception_fp_ieee_inexact 0
		.amdhsa_exception_int_div_zero 0
	.end_amdhsa_kernel
	.section	.text._ZN9rocsparseL29bsrmmnt_small_blockdim_kernelILj64ELj16ELj2EllddddEEv20rocsparse_direction_T3_S2_llNS_24const_host_device_scalarIT7_EEPKT2_PKS2_PKT4_PKT5_llS5_PT6_ll16rocsparse_order_21rocsparse_index_base_b,"axG",@progbits,_ZN9rocsparseL29bsrmmnt_small_blockdim_kernelILj64ELj16ELj2EllddddEEv20rocsparse_direction_T3_S2_llNS_24const_host_device_scalarIT7_EEPKT2_PKS2_PKT4_PKT5_llS5_PT6_ll16rocsparse_order_21rocsparse_index_base_b,comdat
.Lfunc_end42:
	.size	_ZN9rocsparseL29bsrmmnt_small_blockdim_kernelILj64ELj16ELj2EllddddEEv20rocsparse_direction_T3_S2_llNS_24const_host_device_scalarIT7_EEPKT2_PKS2_PKT4_PKT5_llS5_PT6_ll16rocsparse_order_21rocsparse_index_base_b, .Lfunc_end42-_ZN9rocsparseL29bsrmmnt_small_blockdim_kernelILj64ELj16ELj2EllddddEEv20rocsparse_direction_T3_S2_llNS_24const_host_device_scalarIT7_EEPKT2_PKS2_PKT4_PKT5_llS5_PT6_ll16rocsparse_order_21rocsparse_index_base_b
                                        ; -- End function
	.set _ZN9rocsparseL29bsrmmnt_small_blockdim_kernelILj64ELj16ELj2EllddddEEv20rocsparse_direction_T3_S2_llNS_24const_host_device_scalarIT7_EEPKT2_PKS2_PKT4_PKT5_llS5_PT6_ll16rocsparse_order_21rocsparse_index_base_b.num_vgpr, 45
	.set _ZN9rocsparseL29bsrmmnt_small_blockdim_kernelILj64ELj16ELj2EllddddEEv20rocsparse_direction_T3_S2_llNS_24const_host_device_scalarIT7_EEPKT2_PKS2_PKT4_PKT5_llS5_PT6_ll16rocsparse_order_21rocsparse_index_base_b.num_agpr, 0
	.set _ZN9rocsparseL29bsrmmnt_small_blockdim_kernelILj64ELj16ELj2EllddddEEv20rocsparse_direction_T3_S2_llNS_24const_host_device_scalarIT7_EEPKT2_PKS2_PKT4_PKT5_llS5_PT6_ll16rocsparse_order_21rocsparse_index_base_b.numbered_sgpr, 31
	.set _ZN9rocsparseL29bsrmmnt_small_blockdim_kernelILj64ELj16ELj2EllddddEEv20rocsparse_direction_T3_S2_llNS_24const_host_device_scalarIT7_EEPKT2_PKS2_PKT4_PKT5_llS5_PT6_ll16rocsparse_order_21rocsparse_index_base_b.num_named_barrier, 0
	.set _ZN9rocsparseL29bsrmmnt_small_blockdim_kernelILj64ELj16ELj2EllddddEEv20rocsparse_direction_T3_S2_llNS_24const_host_device_scalarIT7_EEPKT2_PKS2_PKT4_PKT5_llS5_PT6_ll16rocsparse_order_21rocsparse_index_base_b.private_seg_size, 0
	.set _ZN9rocsparseL29bsrmmnt_small_blockdim_kernelILj64ELj16ELj2EllddddEEv20rocsparse_direction_T3_S2_llNS_24const_host_device_scalarIT7_EEPKT2_PKS2_PKT4_PKT5_llS5_PT6_ll16rocsparse_order_21rocsparse_index_base_b.uses_vcc, 1
	.set _ZN9rocsparseL29bsrmmnt_small_blockdim_kernelILj64ELj16ELj2EllddddEEv20rocsparse_direction_T3_S2_llNS_24const_host_device_scalarIT7_EEPKT2_PKS2_PKT4_PKT5_llS5_PT6_ll16rocsparse_order_21rocsparse_index_base_b.uses_flat_scratch, 0
	.set _ZN9rocsparseL29bsrmmnt_small_blockdim_kernelILj64ELj16ELj2EllddddEEv20rocsparse_direction_T3_S2_llNS_24const_host_device_scalarIT7_EEPKT2_PKS2_PKT4_PKT5_llS5_PT6_ll16rocsparse_order_21rocsparse_index_base_b.has_dyn_sized_stack, 0
	.set _ZN9rocsparseL29bsrmmnt_small_blockdim_kernelILj64ELj16ELj2EllddddEEv20rocsparse_direction_T3_S2_llNS_24const_host_device_scalarIT7_EEPKT2_PKS2_PKT4_PKT5_llS5_PT6_ll16rocsparse_order_21rocsparse_index_base_b.has_recursion, 0
	.set _ZN9rocsparseL29bsrmmnt_small_blockdim_kernelILj64ELj16ELj2EllddddEEv20rocsparse_direction_T3_S2_llNS_24const_host_device_scalarIT7_EEPKT2_PKS2_PKT4_PKT5_llS5_PT6_ll16rocsparse_order_21rocsparse_index_base_b.has_indirect_call, 0
	.section	.AMDGPU.csdata,"",@progbits
; Kernel info:
; codeLenInByte = 1436
; TotalNumSgprs: 35
; NumVgprs: 45
; ScratchSize: 0
; MemoryBound: 0
; FloatMode: 240
; IeeeMode: 1
; LDSByteSize: 2048 bytes/workgroup (compile time only)
; SGPRBlocks: 8
; VGPRBlocks: 11
; NumSGPRsForWavesPerEU: 65
; NumVGPRsForWavesPerEU: 45
; Occupancy: 5
; WaveLimiterHint : 1
; COMPUTE_PGM_RSRC2:SCRATCH_EN: 0
; COMPUTE_PGM_RSRC2:USER_SGPR: 6
; COMPUTE_PGM_RSRC2:TRAP_HANDLER: 0
; COMPUTE_PGM_RSRC2:TGID_X_EN: 1
; COMPUTE_PGM_RSRC2:TGID_Y_EN: 0
; COMPUTE_PGM_RSRC2:TGID_Z_EN: 0
; COMPUTE_PGM_RSRC2:TIDIG_COMP_CNT: 0
	.section	.text._ZN9rocsparseL29bsrmmnt_small_blockdim_kernelILj64ELj32ELj2EllddddEEv20rocsparse_direction_T3_S2_llNS_24const_host_device_scalarIT7_EEPKT2_PKS2_PKT4_PKT5_llS5_PT6_ll16rocsparse_order_21rocsparse_index_base_b,"axG",@progbits,_ZN9rocsparseL29bsrmmnt_small_blockdim_kernelILj64ELj32ELj2EllddddEEv20rocsparse_direction_T3_S2_llNS_24const_host_device_scalarIT7_EEPKT2_PKS2_PKT4_PKT5_llS5_PT6_ll16rocsparse_order_21rocsparse_index_base_b,comdat
	.globl	_ZN9rocsparseL29bsrmmnt_small_blockdim_kernelILj64ELj32ELj2EllddddEEv20rocsparse_direction_T3_S2_llNS_24const_host_device_scalarIT7_EEPKT2_PKS2_PKT4_PKT5_llS5_PT6_ll16rocsparse_order_21rocsparse_index_base_b ; -- Begin function _ZN9rocsparseL29bsrmmnt_small_blockdim_kernelILj64ELj32ELj2EllddddEEv20rocsparse_direction_T3_S2_llNS_24const_host_device_scalarIT7_EEPKT2_PKS2_PKT4_PKT5_llS5_PT6_ll16rocsparse_order_21rocsparse_index_base_b
	.p2align	8
	.type	_ZN9rocsparseL29bsrmmnt_small_blockdim_kernelILj64ELj32ELj2EllddddEEv20rocsparse_direction_T3_S2_llNS_24const_host_device_scalarIT7_EEPKT2_PKS2_PKT4_PKT5_llS5_PT6_ll16rocsparse_order_21rocsparse_index_base_b,@function
_ZN9rocsparseL29bsrmmnt_small_blockdim_kernelILj64ELj32ELj2EllddddEEv20rocsparse_direction_T3_S2_llNS_24const_host_device_scalarIT7_EEPKT2_PKS2_PKT4_PKT5_llS5_PT6_ll16rocsparse_order_21rocsparse_index_base_b: ; @_ZN9rocsparseL29bsrmmnt_small_blockdim_kernelILj64ELj32ELj2EllddddEEv20rocsparse_direction_T3_S2_llNS_24const_host_device_scalarIT7_EEPKT2_PKS2_PKT4_PKT5_llS5_PT6_ll16rocsparse_order_21rocsparse_index_base_b
; %bb.0:
	s_load_dwordx4 s[24:27], s[4:5], 0x80
	s_load_dwordx2 s[8:9], s[4:5], 0x28
	s_load_dwordx2 s[0:1], s[4:5], 0x60
	s_waitcnt lgkmcnt(0)
	s_bitcmp1_b32 s26, 0
	s_cselect_b64 s[10:11], -1, 0
	v_mov_b32_e32 v1, s8
	s_xor_b64 s[2:3], s[10:11], -1
	s_and_b64 vcc, exec, s[10:11]
	v_mov_b32_e32 v2, s9
	s_cbranch_vccnz .LBB43_2
; %bb.1:
	v_mov_b32_e32 v1, s8
	v_mov_b32_e32 v2, s9
	flat_load_dwordx2 v[1:2], v[1:2]
.LBB43_2:
	v_mov_b32_e32 v4, s1
	s_andn2_b64 vcc, exec, s[2:3]
	v_mov_b32_e32 v3, s0
	s_cbranch_vccnz .LBB43_4
; %bb.3:
	v_mov_b32_e32 v4, s1
	v_mov_b32_e32 v3, s0
	flat_load_dwordx2 v[3:4], v[3:4]
.LBB43_4:
	s_waitcnt vmcnt(0) lgkmcnt(0)
	v_cmp_neq_f64_e32 vcc, 0, v[1:2]
	v_cmp_neq_f64_e64 s[0:1], 1.0, v[3:4]
	s_or_b64 s[0:1], vcc, s[0:1]
	s_and_saveexec_b64 s[2:3], s[0:1]
	s_cbranch_execz .LBB43_29
; %bb.5:
	s_load_dword s0, s[4:5], 0x9c
	s_load_dwordx4 s[16:19], s[4:5], 0x8
	v_mov_b32_e32 v6, 0
	s_waitcnt lgkmcnt(0)
	s_and_b32 s0, s0, 0xffff
	s_mul_i32 s6, s6, s0
	v_add_u32_e32 v7, s6, v0
	v_lshrrev_b32_e32 v5, 6, v7
	v_cmp_gt_i64_e32 vcc, s[16:17], v[5:6]
	s_and_b64 exec, exec, vcc
	s_cbranch_execz .LBB43_29
; %bb.6:
	v_cmp_lt_i64_e64 s[0:1], s[18:19], 1
	s_and_b64 vcc, exec, s[0:1]
	s_cbranch_vccnz .LBB43_29
; %bb.7:
	s_load_dwordx8 s[8:15], s[4:5], 0x30
	v_lshlrev_b32_e32 v5, 3, v5
	v_lshrrev_b32_e32 v7, 5, v7
	v_and_b32_e32 v23, 31, v0
	s_cmp_lg_u32 s24, 1
	s_waitcnt lgkmcnt(0)
	global_load_dwordx4 v[9:12], v5, s[8:9]
	s_load_dword s2, s[4:5], 0x0
	s_load_dwordx4 s[20:23], s[4:5], 0x68
	s_load_dwordx2 s[6:7], s[4:5], 0x50
	v_lshrrev_b32_e32 v5, 5, v0
	v_mov_b32_e32 v0, 0x600
	v_lshl_or_b32 v0, v5, 8, v0
	s_cselect_b64 s[16:17], -1, 0
	v_mul_u32_u24_e32 v24, 0x300, v5
	s_waitcnt lgkmcnt(0)
	s_cmp_eq_u32 s2, 0
	v_mad_u64_u32 v[5:6], s[2:3], v7, s22, 0
	v_lshlrev_b32_e32 v8, 3, v7
	v_and_b32_e32 v14, 8, v8
	v_mov_b32_e32 v15, s13
	v_add_co_u32_e32 v18, vcc, s12, v14
	v_addc_co_u32_e32 v15, vcc, 0, v15, vcc
	v_mad_u64_u32 v[6:7], s[2:3], v7, s23, v[6:7]
	v_mov_b32_e32 v17, s21
	v_add_co_u32_e32 v26, vcc, s20, v8
	v_addc_co_u32_e32 v27, vcc, 0, v17, vcc
	v_add_co_u32_e32 v8, vcc, v18, v14
	v_cmp_neq_f64_e64 s[0:1], 0, v[3:4]
	v_addc_co_u32_e32 v14, vcc, 0, v15, vcc
	v_lshlrev_b64 v[5:6], 3, v[5:6]
	s_cselect_b64 vcc, -1, 0
	v_mov_b32_e32 v16, s21
	v_cndmask_b32_e32 v28, v15, v14, vcc
	v_cndmask_b32_e32 v29, v18, v8, vcc
	s_and_b64 s[2:3], vcc, exec
	v_add_co_u32_e32 v30, vcc, s20, v5
	v_addc_co_u32_e32 v31, vcc, v16, v6, vcc
	v_mul_u32_u24_e32 v13, 24, v23
	s_mov_b32 s28, s25
	s_mov_b64 s[8:9], 0
	v_lshl_or_b32 v25, v23, 3, v0
	s_cselect_b32 s29, 8, 16
	v_add_u32_e32 v32, v24, v13
	s_lshl_b64 s[12:13], s[6:7], 3
	s_waitcnt vmcnt(0)
	v_subrev_co_u32_e32 v5, vcc, s25, v9
	v_subbrev_co_u32_e32 v6, vcc, 0, v10, vcc
	v_subrev_co_u32_e32 v7, vcc, s25, v11
	v_cmp_lt_i64_e64 s[2:3], v[9:10], v[11:12]
	v_subbrev_co_u32_e32 v8, vcc, 0, v12, vcc
	s_branch .LBB43_9
.LBB43_8:                               ;   in Loop: Header=BB43_9 Depth=1
	s_or_b64 exec, exec, s[4:5]
	s_add_u32 s8, s8, 32
	v_mov_b32_e32 v9, s18
	s_addc_u32 s9, s9, 0
	v_mov_b32_e32 v10, s19
	v_cmp_lt_i64_e32 vcc, s[8:9], v[9:10]
	s_cbranch_vccz .LBB43_29
.LBB43_9:                               ; =>This Loop Header: Depth=1
                                        ;     Child Loop BB43_12 Depth 2
                                        ;       Child Loop BB43_16 Depth 3
	v_mov_b32_e32 v11, 0
	v_mov_b32_e32 v10, s9
	;; [unrolled: 1-line block ×3, first 2 shown]
	v_or_b32_e32 v9, s8, v23
	s_and_saveexec_b64 s[20:21], s[2:3]
	s_cbranch_execz .LBB43_18
; %bb.10:                               ;   in Loop: Header=BB43_9 Depth=1
	v_lshlrev_b64 v[11:12], 3, v[9:10]
	v_mov_b32_e32 v13, s15
	v_add_co_u32_e64 v33, s[4:5], s14, v11
	v_cmp_gt_i64_e32 vcc, s[18:19], v[9:10]
	v_addc_co_u32_e64 v34, s[4:5], v13, v12, s[4:5]
	v_mov_b32_e32 v11, 0
	v_mov_b32_e32 v14, v6
	;; [unrolled: 1-line block ×3, first 2 shown]
	s_mov_b64 s[24:25], 0
	v_mov_b32_e32 v13, v5
	s_branch .LBB43_12
.LBB43_11:                              ;   in Loop: Header=BB43_12 Depth=2
	s_or_b64 exec, exec, s[26:27]
	v_add_co_u32_e64 v13, s[4:5], 32, v13
	v_addc_co_u32_e64 v14, s[4:5], 0, v14, s[4:5]
	v_cmp_ge_i64_e64 s[4:5], v[13:14], v[7:8]
	s_or_b64 s[24:25], s[4:5], s[24:25]
	s_andn2_b64 exec, exec, s[24:25]
	s_cbranch_execz .LBB43_17
.LBB43_12:                              ;   Parent Loop BB43_9 Depth=1
                                        ; =>  This Loop Header: Depth=2
                                        ;       Child Loop BB43_16 Depth 3
	v_add_co_u32_e64 v17, s[4:5], v13, v23
	v_addc_co_u32_e64 v18, s[4:5], 0, v14, s[4:5]
	v_cmp_lt_i64_e64 s[4:5], v[17:18], v[7:8]
	v_mov_b32_e32 v21, 0
	v_mov_b32_e32 v15, 0
	;; [unrolled: 1-line block ×6, first 2 shown]
	s_and_saveexec_b64 s[26:27], s[4:5]
	s_cbranch_execz .LBB43_14
; %bb.13:                               ;   in Loop: Header=BB43_12 Depth=2
	v_lshlrev_b64 v[15:16], 3, v[17:18]
	v_mov_b32_e32 v19, s11
	v_add_co_u32_e64 v15, s[4:5], s10, v15
	v_addc_co_u32_e64 v16, s[4:5], v19, v16, s[4:5]
	global_load_dwordx2 v[21:22], v[15:16], off
	v_lshlrev_b64 v[15:16], 5, v[17:18]
	v_add_co_u32_e64 v17, s[4:5], v29, v15
	v_addc_co_u32_e64 v18, s[4:5], v28, v16, s[4:5]
	v_add_co_u32_e64 v35, s[4:5], s29, v17
	v_addc_co_u32_e64 v36, s[4:5], 0, v18, s[4:5]
	global_load_dwordx2 v[15:16], v[17:18], off
	global_load_dwordx2 v[19:20], v[35:36], off
	s_waitcnt vmcnt(2)
	v_subrev_co_u32_e64 v17, s[4:5], s28, v21
	v_subbrev_co_u32_e64 v18, s[4:5], 0, v22, s[4:5]
	v_lshlrev_b64 v[21:22], 1, v[17:18]
.LBB43_14:                              ;   in Loop: Header=BB43_12 Depth=2
	s_or_b64 exec, exec, s[26:27]
	ds_write_b64 v25, v[21:22]
	s_waitcnt vmcnt(0)
	ds_write2_b64 v32, v[15:16], v[19:20] offset1:1
	s_waitcnt lgkmcnt(0)
	; wave barrier
	s_and_saveexec_b64 s[26:27], vcc
	s_cbranch_execz .LBB43_11
; %bb.15:                               ;   in Loop: Header=BB43_12 Depth=2
	s_mov_b32 s30, 0
	v_mov_b32_e32 v15, v24
.LBB43_16:                              ;   Parent Loop BB43_9 Depth=1
                                        ;     Parent Loop BB43_12 Depth=2
                                        ; =>    This Inner Loop Header: Depth=3
	v_add_u32_e32 v16, s30, v0
	ds_read_b128 v[16:19], v16
	v_mov_b32_e32 v22, s13
	s_add_i32 s30, s30, 16
	s_cmpk_lg_i32 s30, 0x100
	s_waitcnt lgkmcnt(0)
	v_mul_lo_u32 v20, v17, s6
	v_mul_lo_u32 v21, v16, s7
	v_mad_u64_u32 v[16:17], s[4:5], v16, s6, 0
	v_mul_lo_u32 v35, v19, s6
	v_mul_lo_u32 v36, v18, s7
	v_add3_u32 v17, v17, v21, v20
	v_lshlrev_b64 v[16:17], 3, v[16:17]
	v_add_co_u32_e64 v16, s[4:5], v33, v16
	v_addc_co_u32_e64 v17, s[4:5], v34, v17, s[4:5]
	global_load_dwordx2 v[20:21], v[16:17], off
	v_mad_u64_u32 v[18:19], s[4:5], v18, s6, 0
	v_add_co_u32_e64 v16, s[4:5], s12, v16
	v_addc_co_u32_e64 v17, s[4:5], v17, v22, s[4:5]
	global_load_dwordx2 v[39:40], v[16:17], off
	v_add3_u32 v19, v19, v36, v35
	v_lshlrev_b64 v[16:17], 3, v[18:19]
	v_add_co_u32_e64 v16, s[4:5], v33, v16
	v_addc_co_u32_e64 v17, s[4:5], v34, v17, s[4:5]
	global_load_dwordx2 v[41:42], v[16:17], off
	v_add_co_u32_e64 v16, s[4:5], s12, v16
	v_addc_co_u32_e64 v17, s[4:5], v17, v22, s[4:5]
	global_load_dwordx2 v[43:44], v[16:17], off
	ds_read_b128 v[16:19], v15
	ds_read2_b64 v[35:38], v15 offset0:3 offset1:4
	v_add_u32_e32 v15, 48, v15
	s_waitcnt vmcnt(3) lgkmcnt(1)
	v_fma_f64 v[11:12], v[16:17], v[20:21], v[11:12]
	s_waitcnt vmcnt(2)
	v_fma_f64 v[11:12], v[18:19], v[39:40], v[11:12]
	s_waitcnt vmcnt(1) lgkmcnt(0)
	v_fma_f64 v[11:12], v[35:36], v[41:42], v[11:12]
	s_waitcnt vmcnt(0)
	v_fma_f64 v[11:12], v[37:38], v[43:44], v[11:12]
	s_cbranch_scc1 .LBB43_16
	s_branch .LBB43_11
.LBB43_17:                              ;   in Loop: Header=BB43_9 Depth=1
	s_or_b64 exec, exec, s[24:25]
.LBB43_18:                              ;   in Loop: Header=BB43_9 Depth=1
	s_or_b64 exec, exec, s[20:21]
	v_cmp_gt_i64_e32 vcc, s[18:19], v[9:10]
	s_and_saveexec_b64 s[4:5], vcc
	s_cbranch_execz .LBB43_8
; %bb.19:                               ;   in Loop: Header=BB43_9 Depth=1
	s_and_saveexec_b64 s[20:21], s[0:1]
	s_xor_b64 s[20:21], exec, s[20:21]
	s_cbranch_execz .LBB43_24
; %bb.20:                               ;   in Loop: Header=BB43_9 Depth=1
	s_mov_b64 s[24:25], -1
	s_and_b64 vcc, exec, s[16:17]
	s_cbranch_vccz .LBB43_22
; %bb.21:                               ;   in Loop: Header=BB43_9 Depth=1
	v_lshlrev_b64 v[13:14], 3, v[9:10]
	v_mul_f64 v[17:18], v[1:2], v[11:12]
	v_add_co_u32_e32 v13, vcc, v30, v13
	v_addc_co_u32_e32 v14, vcc, v31, v14, vcc
	global_load_dwordx2 v[15:16], v[13:14], off
	s_mov_b64 s[24:25], 0
	s_waitcnt vmcnt(0)
	v_fma_f64 v[15:16], v[3:4], v[15:16], v[17:18]
	global_store_dwordx2 v[13:14], v[15:16], off
.LBB43_22:                              ;   in Loop: Header=BB43_9 Depth=1
	s_andn2_b64 vcc, exec, s[24:25]
	s_cbranch_vccnz .LBB43_24
; %bb.23:                               ;   in Loop: Header=BB43_9 Depth=1
	v_mul_lo_u32 v13, v10, s22
	v_mul_lo_u32 v14, v9, s23
	v_mad_u64_u32 v[9:10], s[24:25], v9, s22, 0
	v_mul_f64 v[11:12], v[1:2], v[11:12]
	v_add3_u32 v10, v10, v14, v13
	v_lshlrev_b64 v[9:10], 3, v[9:10]
	v_add_co_u32_e32 v9, vcc, v26, v9
	v_addc_co_u32_e32 v10, vcc, v27, v10, vcc
	global_load_dwordx2 v[13:14], v[9:10], off
	s_waitcnt vmcnt(0)
	v_fma_f64 v[11:12], v[3:4], v[13:14], v[11:12]
	global_store_dwordx2 v[9:10], v[11:12], off
                                        ; implicit-def: $vgpr9_vgpr10
                                        ; implicit-def: $vgpr11_vgpr12
.LBB43_24:                              ;   in Loop: Header=BB43_9 Depth=1
	s_andn2_saveexec_b64 s[20:21], s[20:21]
	s_cbranch_execz .LBB43_8
; %bb.25:                               ;   in Loop: Header=BB43_9 Depth=1
	v_mul_f64 v[11:12], v[1:2], v[11:12]
	s_mov_b64 s[20:21], -1
	s_and_b64 vcc, exec, s[16:17]
	s_cbranch_vccz .LBB43_27
; %bb.26:                               ;   in Loop: Header=BB43_9 Depth=1
	v_lshlrev_b64 v[13:14], 3, v[9:10]
	s_mov_b64 s[20:21], 0
	v_add_co_u32_e32 v13, vcc, v30, v13
	v_addc_co_u32_e32 v14, vcc, v31, v14, vcc
	global_store_dwordx2 v[13:14], v[11:12], off
.LBB43_27:                              ;   in Loop: Header=BB43_9 Depth=1
	s_andn2_b64 vcc, exec, s[20:21]
	s_cbranch_vccnz .LBB43_8
; %bb.28:                               ;   in Loop: Header=BB43_9 Depth=1
	v_mul_lo_u32 v13, v10, s22
	v_mul_lo_u32 v14, v9, s23
	v_mad_u64_u32 v[9:10], s[20:21], v9, s22, 0
	v_add3_u32 v10, v10, v14, v13
	v_lshlrev_b64 v[9:10], 3, v[9:10]
	v_add_co_u32_e32 v9, vcc, v26, v9
	v_addc_co_u32_e32 v10, vcc, v27, v10, vcc
	global_store_dwordx2 v[9:10], v[11:12], off
	s_branch .LBB43_8
.LBB43_29:
	s_endpgm
	.section	.rodata,"a",@progbits
	.p2align	6, 0x0
	.amdhsa_kernel _ZN9rocsparseL29bsrmmnt_small_blockdim_kernelILj64ELj32ELj2EllddddEEv20rocsparse_direction_T3_S2_llNS_24const_host_device_scalarIT7_EEPKT2_PKS2_PKT4_PKT5_llS5_PT6_ll16rocsparse_order_21rocsparse_index_base_b
		.amdhsa_group_segment_fixed_size 2048
		.amdhsa_private_segment_fixed_size 0
		.amdhsa_kernarg_size 400
		.amdhsa_user_sgpr_count 6
		.amdhsa_user_sgpr_private_segment_buffer 1
		.amdhsa_user_sgpr_dispatch_ptr 0
		.amdhsa_user_sgpr_queue_ptr 0
		.amdhsa_user_sgpr_kernarg_segment_ptr 1
		.amdhsa_user_sgpr_dispatch_id 0
		.amdhsa_user_sgpr_flat_scratch_init 0
		.amdhsa_user_sgpr_private_segment_size 0
		.amdhsa_uses_dynamic_stack 0
		.amdhsa_system_sgpr_private_segment_wavefront_offset 0
		.amdhsa_system_sgpr_workgroup_id_x 1
		.amdhsa_system_sgpr_workgroup_id_y 0
		.amdhsa_system_sgpr_workgroup_id_z 0
		.amdhsa_system_sgpr_workgroup_info 0
		.amdhsa_system_vgpr_workitem_id 0
		.amdhsa_next_free_vgpr 45
		.amdhsa_next_free_sgpr 61
		.amdhsa_reserve_vcc 1
		.amdhsa_reserve_flat_scratch 0
		.amdhsa_float_round_mode_32 0
		.amdhsa_float_round_mode_16_64 0
		.amdhsa_float_denorm_mode_32 3
		.amdhsa_float_denorm_mode_16_64 3
		.amdhsa_dx10_clamp 1
		.amdhsa_ieee_mode 1
		.amdhsa_fp16_overflow 0
		.amdhsa_exception_fp_ieee_invalid_op 0
		.amdhsa_exception_fp_denorm_src 0
		.amdhsa_exception_fp_ieee_div_zero 0
		.amdhsa_exception_fp_ieee_overflow 0
		.amdhsa_exception_fp_ieee_underflow 0
		.amdhsa_exception_fp_ieee_inexact 0
		.amdhsa_exception_int_div_zero 0
	.end_amdhsa_kernel
	.section	.text._ZN9rocsparseL29bsrmmnt_small_blockdim_kernelILj64ELj32ELj2EllddddEEv20rocsparse_direction_T3_S2_llNS_24const_host_device_scalarIT7_EEPKT2_PKS2_PKT4_PKT5_llS5_PT6_ll16rocsparse_order_21rocsparse_index_base_b,"axG",@progbits,_ZN9rocsparseL29bsrmmnt_small_blockdim_kernelILj64ELj32ELj2EllddddEEv20rocsparse_direction_T3_S2_llNS_24const_host_device_scalarIT7_EEPKT2_PKS2_PKT4_PKT5_llS5_PT6_ll16rocsparse_order_21rocsparse_index_base_b,comdat
.Lfunc_end43:
	.size	_ZN9rocsparseL29bsrmmnt_small_blockdim_kernelILj64ELj32ELj2EllddddEEv20rocsparse_direction_T3_S2_llNS_24const_host_device_scalarIT7_EEPKT2_PKS2_PKT4_PKT5_llS5_PT6_ll16rocsparse_order_21rocsparse_index_base_b, .Lfunc_end43-_ZN9rocsparseL29bsrmmnt_small_blockdim_kernelILj64ELj32ELj2EllddddEEv20rocsparse_direction_T3_S2_llNS_24const_host_device_scalarIT7_EEPKT2_PKS2_PKT4_PKT5_llS5_PT6_ll16rocsparse_order_21rocsparse_index_base_b
                                        ; -- End function
	.set _ZN9rocsparseL29bsrmmnt_small_blockdim_kernelILj64ELj32ELj2EllddddEEv20rocsparse_direction_T3_S2_llNS_24const_host_device_scalarIT7_EEPKT2_PKS2_PKT4_PKT5_llS5_PT6_ll16rocsparse_order_21rocsparse_index_base_b.num_vgpr, 45
	.set _ZN9rocsparseL29bsrmmnt_small_blockdim_kernelILj64ELj32ELj2EllddddEEv20rocsparse_direction_T3_S2_llNS_24const_host_device_scalarIT7_EEPKT2_PKS2_PKT4_PKT5_llS5_PT6_ll16rocsparse_order_21rocsparse_index_base_b.num_agpr, 0
	.set _ZN9rocsparseL29bsrmmnt_small_blockdim_kernelILj64ELj32ELj2EllddddEEv20rocsparse_direction_T3_S2_llNS_24const_host_device_scalarIT7_EEPKT2_PKS2_PKT4_PKT5_llS5_PT6_ll16rocsparse_order_21rocsparse_index_base_b.numbered_sgpr, 31
	.set _ZN9rocsparseL29bsrmmnt_small_blockdim_kernelILj64ELj32ELj2EllddddEEv20rocsparse_direction_T3_S2_llNS_24const_host_device_scalarIT7_EEPKT2_PKS2_PKT4_PKT5_llS5_PT6_ll16rocsparse_order_21rocsparse_index_base_b.num_named_barrier, 0
	.set _ZN9rocsparseL29bsrmmnt_small_blockdim_kernelILj64ELj32ELj2EllddddEEv20rocsparse_direction_T3_S2_llNS_24const_host_device_scalarIT7_EEPKT2_PKS2_PKT4_PKT5_llS5_PT6_ll16rocsparse_order_21rocsparse_index_base_b.private_seg_size, 0
	.set _ZN9rocsparseL29bsrmmnt_small_blockdim_kernelILj64ELj32ELj2EllddddEEv20rocsparse_direction_T3_S2_llNS_24const_host_device_scalarIT7_EEPKT2_PKS2_PKT4_PKT5_llS5_PT6_ll16rocsparse_order_21rocsparse_index_base_b.uses_vcc, 1
	.set _ZN9rocsparseL29bsrmmnt_small_blockdim_kernelILj64ELj32ELj2EllddddEEv20rocsparse_direction_T3_S2_llNS_24const_host_device_scalarIT7_EEPKT2_PKS2_PKT4_PKT5_llS5_PT6_ll16rocsparse_order_21rocsparse_index_base_b.uses_flat_scratch, 0
	.set _ZN9rocsparseL29bsrmmnt_small_blockdim_kernelILj64ELj32ELj2EllddddEEv20rocsparse_direction_T3_S2_llNS_24const_host_device_scalarIT7_EEPKT2_PKS2_PKT4_PKT5_llS5_PT6_ll16rocsparse_order_21rocsparse_index_base_b.has_dyn_sized_stack, 0
	.set _ZN9rocsparseL29bsrmmnt_small_blockdim_kernelILj64ELj32ELj2EllddddEEv20rocsparse_direction_T3_S2_llNS_24const_host_device_scalarIT7_EEPKT2_PKS2_PKT4_PKT5_llS5_PT6_ll16rocsparse_order_21rocsparse_index_base_b.has_recursion, 0
	.set _ZN9rocsparseL29bsrmmnt_small_blockdim_kernelILj64ELj32ELj2EllddddEEv20rocsparse_direction_T3_S2_llNS_24const_host_device_scalarIT7_EEPKT2_PKS2_PKT4_PKT5_llS5_PT6_ll16rocsparse_order_21rocsparse_index_base_b.has_indirect_call, 0
	.section	.AMDGPU.csdata,"",@progbits
; Kernel info:
; codeLenInByte = 1436
; TotalNumSgprs: 35
; NumVgprs: 45
; ScratchSize: 0
; MemoryBound: 0
; FloatMode: 240
; IeeeMode: 1
; LDSByteSize: 2048 bytes/workgroup (compile time only)
; SGPRBlocks: 8
; VGPRBlocks: 11
; NumSGPRsForWavesPerEU: 65
; NumVGPRsForWavesPerEU: 45
; Occupancy: 5
; WaveLimiterHint : 1
; COMPUTE_PGM_RSRC2:SCRATCH_EN: 0
; COMPUTE_PGM_RSRC2:USER_SGPR: 6
; COMPUTE_PGM_RSRC2:TRAP_HANDLER: 0
; COMPUTE_PGM_RSRC2:TGID_X_EN: 1
; COMPUTE_PGM_RSRC2:TGID_Y_EN: 0
; COMPUTE_PGM_RSRC2:TGID_Z_EN: 0
; COMPUTE_PGM_RSRC2:TIDIG_COMP_CNT: 0
	.section	.text._ZN9rocsparseL29bsrmmnt_small_blockdim_kernelILj64ELj64ELj2EllddddEEv20rocsparse_direction_T3_S2_llNS_24const_host_device_scalarIT7_EEPKT2_PKS2_PKT4_PKT5_llS5_PT6_ll16rocsparse_order_21rocsparse_index_base_b,"axG",@progbits,_ZN9rocsparseL29bsrmmnt_small_blockdim_kernelILj64ELj64ELj2EllddddEEv20rocsparse_direction_T3_S2_llNS_24const_host_device_scalarIT7_EEPKT2_PKS2_PKT4_PKT5_llS5_PT6_ll16rocsparse_order_21rocsparse_index_base_b,comdat
	.globl	_ZN9rocsparseL29bsrmmnt_small_blockdim_kernelILj64ELj64ELj2EllddddEEv20rocsparse_direction_T3_S2_llNS_24const_host_device_scalarIT7_EEPKT2_PKS2_PKT4_PKT5_llS5_PT6_ll16rocsparse_order_21rocsparse_index_base_b ; -- Begin function _ZN9rocsparseL29bsrmmnt_small_blockdim_kernelILj64ELj64ELj2EllddddEEv20rocsparse_direction_T3_S2_llNS_24const_host_device_scalarIT7_EEPKT2_PKS2_PKT4_PKT5_llS5_PT6_ll16rocsparse_order_21rocsparse_index_base_b
	.p2align	8
	.type	_ZN9rocsparseL29bsrmmnt_small_blockdim_kernelILj64ELj64ELj2EllddddEEv20rocsparse_direction_T3_S2_llNS_24const_host_device_scalarIT7_EEPKT2_PKS2_PKT4_PKT5_llS5_PT6_ll16rocsparse_order_21rocsparse_index_base_b,@function
_ZN9rocsparseL29bsrmmnt_small_blockdim_kernelILj64ELj64ELj2EllddddEEv20rocsparse_direction_T3_S2_llNS_24const_host_device_scalarIT7_EEPKT2_PKS2_PKT4_PKT5_llS5_PT6_ll16rocsparse_order_21rocsparse_index_base_b: ; @_ZN9rocsparseL29bsrmmnt_small_blockdim_kernelILj64ELj64ELj2EllddddEEv20rocsparse_direction_T3_S2_llNS_24const_host_device_scalarIT7_EEPKT2_PKS2_PKT4_PKT5_llS5_PT6_ll16rocsparse_order_21rocsparse_index_base_b
; %bb.0:
	s_load_dwordx4 s[24:27], s[4:5], 0x80
	s_load_dwordx2 s[8:9], s[4:5], 0x28
	s_load_dwordx2 s[0:1], s[4:5], 0x60
	s_waitcnt lgkmcnt(0)
	s_bitcmp1_b32 s26, 0
	s_cselect_b64 s[10:11], -1, 0
	v_mov_b32_e32 v1, s8
	s_xor_b64 s[2:3], s[10:11], -1
	s_and_b64 vcc, exec, s[10:11]
	v_mov_b32_e32 v2, s9
	s_cbranch_vccnz .LBB44_2
; %bb.1:
	v_mov_b32_e32 v1, s8
	v_mov_b32_e32 v2, s9
	flat_load_dwordx2 v[1:2], v[1:2]
.LBB44_2:
	v_mov_b32_e32 v4, s1
	s_andn2_b64 vcc, exec, s[2:3]
	v_mov_b32_e32 v3, s0
	s_cbranch_vccnz .LBB44_4
; %bb.3:
	v_mov_b32_e32 v4, s1
	v_mov_b32_e32 v3, s0
	flat_load_dwordx2 v[3:4], v[3:4]
.LBB44_4:
	s_waitcnt vmcnt(0) lgkmcnt(0)
	v_cmp_neq_f64_e32 vcc, 0, v[1:2]
	v_cmp_neq_f64_e64 s[0:1], 1.0, v[3:4]
	s_or_b64 s[0:1], vcc, s[0:1]
	s_and_saveexec_b64 s[2:3], s[0:1]
	s_cbranch_execz .LBB44_29
; %bb.5:
	s_load_dword s0, s[4:5], 0x9c
	s_load_dwordx4 s[16:19], s[4:5], 0x8
	v_mov_b32_e32 v6, 0
	s_waitcnt lgkmcnt(0)
	s_and_b32 s0, s0, 0xffff
	s_mul_i32 s6, s6, s0
	v_add_u32_e32 v7, s6, v0
	v_lshrrev_b32_e32 v5, 7, v7
	v_cmp_gt_i64_e32 vcc, s[16:17], v[5:6]
	s_and_b64 exec, exec, vcc
	s_cbranch_execz .LBB44_29
; %bb.6:
	v_cmp_lt_i64_e64 s[0:1], s[18:19], 1
	s_and_b64 vcc, exec, s[0:1]
	s_cbranch_vccnz .LBB44_29
; %bb.7:
	s_load_dwordx8 s[8:15], s[4:5], 0x30
	v_lshlrev_b32_e32 v5, 3, v5
	v_lshrrev_b32_e32 v7, 6, v7
	s_cmp_lg_u32 s24, 1
	s_cselect_b64 s[16:17], -1, 0
	s_waitcnt lgkmcnt(0)
	global_load_dwordx4 v[9:12], v5, s[8:9]
	s_load_dword s2, s[4:5], 0x0
	s_load_dwordx4 s[20:23], s[4:5], 0x68
	s_load_dwordx2 s[6:7], s[4:5], 0x50
	v_lshlrev_b32_e32 v8, 3, v7
	v_and_b32_e32 v13, 8, v8
	s_waitcnt lgkmcnt(0)
	s_cmp_eq_u32 s2, 0
	v_mad_u64_u32 v[5:6], s[2:3], v7, s22, 0
	v_mov_b32_e32 v14, s13
	v_add_co_u32_e32 v17, vcc, s12, v13
	v_addc_co_u32_e32 v14, vcc, 0, v14, vcc
	v_mad_u64_u32 v[6:7], s[2:3], v7, s23, v[6:7]
	v_mov_b32_e32 v16, s21
	v_add_co_u32_e32 v26, vcc, s20, v8
	v_addc_co_u32_e32 v27, vcc, 0, v16, vcc
	v_add_co_u32_e32 v8, vcc, v17, v13
	v_cmp_neq_f64_e64 s[0:1], 0, v[3:4]
	v_addc_co_u32_e32 v13, vcc, 0, v14, vcc
	v_lshlrev_b64 v[5:6], 3, v[5:6]
	s_cselect_b64 vcc, -1, 0
	v_mov_b32_e32 v15, s21
	v_cndmask_b32_e32 v28, v14, v13, vcc
	v_cndmask_b32_e32 v29, v17, v8, vcc
	s_and_b64 s[2:3], vcc, exec
	v_add_co_u32_e32 v30, vcc, s20, v5
	v_addc_co_u32_e32 v31, vcc, v15, v6, vcc
	v_mov_b32_e32 v23, 0x600
	s_mov_b32 s28, s25
	v_mul_u32_u24_e32 v24, 24, v0
	s_mov_b64 s[8:9], 0
	v_lshl_or_b32 v25, v0, 3, v23
	s_cselect_b32 s29, 8, 16
	s_lshl_b64 s[12:13], s[6:7], 3
	s_waitcnt vmcnt(0)
	v_subrev_co_u32_e32 v5, vcc, s25, v9
	v_subbrev_co_u32_e32 v6, vcc, 0, v10, vcc
	v_subrev_co_u32_e32 v7, vcc, s25, v11
	v_cmp_lt_i64_e64 s[2:3], v[9:10], v[11:12]
	v_subbrev_co_u32_e32 v8, vcc, 0, v12, vcc
	s_branch .LBB44_9
.LBB44_8:                               ;   in Loop: Header=BB44_9 Depth=1
	s_or_b64 exec, exec, s[4:5]
	s_add_u32 s8, s8, 64
	v_mov_b32_e32 v9, s18
	s_addc_u32 s9, s9, 0
	v_mov_b32_e32 v10, s19
	v_cmp_lt_i64_e32 vcc, s[8:9], v[9:10]
	s_cbranch_vccz .LBB44_29
.LBB44_9:                               ; =>This Loop Header: Depth=1
                                        ;     Child Loop BB44_12 Depth 2
                                        ;       Child Loop BB44_16 Depth 3
	v_mov_b32_e32 v11, 0
	v_mov_b32_e32 v10, s9
	;; [unrolled: 1-line block ×3, first 2 shown]
	v_or_b32_e32 v9, s8, v0
	s_and_saveexec_b64 s[20:21], s[2:3]
	s_cbranch_execz .LBB44_18
; %bb.10:                               ;   in Loop: Header=BB44_9 Depth=1
	v_lshlrev_b64 v[11:12], 3, v[9:10]
	v_mov_b32_e32 v13, s15
	v_add_co_u32_e64 v32, s[4:5], s14, v11
	v_cmp_gt_i64_e32 vcc, s[18:19], v[9:10]
	v_addc_co_u32_e64 v33, s[4:5], v13, v12, s[4:5]
	v_mov_b32_e32 v11, 0
	v_mov_b32_e32 v14, v6
	;; [unrolled: 1-line block ×3, first 2 shown]
	s_mov_b64 s[24:25], 0
	v_mov_b32_e32 v13, v5
	s_branch .LBB44_12
.LBB44_11:                              ;   in Loop: Header=BB44_12 Depth=2
	s_or_b64 exec, exec, s[26:27]
	v_add_co_u32_e64 v13, s[4:5], 64, v13
	v_addc_co_u32_e64 v14, s[4:5], 0, v14, s[4:5]
	v_cmp_ge_i64_e64 s[4:5], v[13:14], v[7:8]
	s_or_b64 s[24:25], s[4:5], s[24:25]
	s_andn2_b64 exec, exec, s[24:25]
	s_cbranch_execz .LBB44_17
.LBB44_12:                              ;   Parent Loop BB44_9 Depth=1
                                        ; =>  This Loop Header: Depth=2
                                        ;       Child Loop BB44_16 Depth 3
	v_add_co_u32_e64 v17, s[4:5], v13, v0
	v_addc_co_u32_e64 v18, s[4:5], 0, v14, s[4:5]
	v_cmp_lt_i64_e64 s[4:5], v[17:18], v[7:8]
	v_mov_b32_e32 v21, 0
	v_mov_b32_e32 v15, 0
	;; [unrolled: 1-line block ×6, first 2 shown]
	s_and_saveexec_b64 s[26:27], s[4:5]
	s_cbranch_execz .LBB44_14
; %bb.13:                               ;   in Loop: Header=BB44_12 Depth=2
	v_lshlrev_b64 v[15:16], 3, v[17:18]
	v_mov_b32_e32 v19, s11
	v_add_co_u32_e64 v15, s[4:5], s10, v15
	v_addc_co_u32_e64 v16, s[4:5], v19, v16, s[4:5]
	global_load_dwordx2 v[21:22], v[15:16], off
	v_lshlrev_b64 v[15:16], 5, v[17:18]
	v_add_co_u32_e64 v17, s[4:5], v29, v15
	v_addc_co_u32_e64 v18, s[4:5], v28, v16, s[4:5]
	v_add_co_u32_e64 v34, s[4:5], s29, v17
	v_addc_co_u32_e64 v35, s[4:5], 0, v18, s[4:5]
	global_load_dwordx2 v[15:16], v[17:18], off
	global_load_dwordx2 v[19:20], v[34:35], off
	s_waitcnt vmcnt(2)
	v_subrev_co_u32_e64 v17, s[4:5], s28, v21
	v_subbrev_co_u32_e64 v18, s[4:5], 0, v22, s[4:5]
	v_lshlrev_b64 v[21:22], 1, v[17:18]
.LBB44_14:                              ;   in Loop: Header=BB44_12 Depth=2
	s_or_b64 exec, exec, s[26:27]
	ds_write_b64 v25, v[21:22]
	s_waitcnt vmcnt(0)
	ds_write2_b64 v24, v[15:16], v[19:20] offset1:1
	s_waitcnt lgkmcnt(0)
	; wave barrier
	s_and_saveexec_b64 s[26:27], vcc
	s_cbranch_execz .LBB44_11
; %bb.15:                               ;   in Loop: Header=BB44_12 Depth=2
	s_mov_b32 s30, 0
	v_mov_b32_e32 v15, 0
.LBB44_16:                              ;   Parent Loop BB44_9 Depth=1
                                        ;     Parent Loop BB44_12 Depth=2
                                        ; =>    This Inner Loop Header: Depth=3
	v_add_u32_e32 v16, s30, v23
	ds_read_b128 v[16:19], v16
	v_mov_b32_e32 v22, s13
	s_add_i32 s30, s30, 16
	s_cmpk_lg_i32 s30, 0x200
	s_waitcnt lgkmcnt(0)
	v_mul_lo_u32 v20, v17, s6
	v_mul_lo_u32 v21, v16, s7
	v_mad_u64_u32 v[16:17], s[4:5], v16, s6, 0
	v_mul_lo_u32 v34, v19, s6
	v_mul_lo_u32 v35, v18, s7
	v_add3_u32 v17, v17, v21, v20
	v_lshlrev_b64 v[16:17], 3, v[16:17]
	v_add_co_u32_e64 v16, s[4:5], v32, v16
	v_addc_co_u32_e64 v17, s[4:5], v33, v17, s[4:5]
	global_load_dwordx2 v[20:21], v[16:17], off
	v_mad_u64_u32 v[18:19], s[4:5], v18, s6, 0
	v_add_co_u32_e64 v16, s[4:5], s12, v16
	v_addc_co_u32_e64 v17, s[4:5], v17, v22, s[4:5]
	global_load_dwordx2 v[38:39], v[16:17], off
	v_add3_u32 v19, v19, v35, v34
	v_lshlrev_b64 v[16:17], 3, v[18:19]
	v_add_co_u32_e64 v16, s[4:5], v32, v16
	v_addc_co_u32_e64 v17, s[4:5], v33, v17, s[4:5]
	global_load_dwordx2 v[40:41], v[16:17], off
	v_add_co_u32_e64 v16, s[4:5], s12, v16
	v_addc_co_u32_e64 v17, s[4:5], v17, v22, s[4:5]
	global_load_dwordx2 v[42:43], v[16:17], off
	ds_read_b128 v[16:19], v15
	ds_read2_b64 v[34:37], v15 offset0:3 offset1:4
	v_add_u32_e32 v15, 48, v15
	s_waitcnt vmcnt(3) lgkmcnt(1)
	v_fma_f64 v[11:12], v[16:17], v[20:21], v[11:12]
	s_waitcnt vmcnt(2)
	v_fma_f64 v[11:12], v[18:19], v[38:39], v[11:12]
	s_waitcnt vmcnt(1) lgkmcnt(0)
	v_fma_f64 v[11:12], v[34:35], v[40:41], v[11:12]
	s_waitcnt vmcnt(0)
	v_fma_f64 v[11:12], v[36:37], v[42:43], v[11:12]
	s_cbranch_scc1 .LBB44_16
	s_branch .LBB44_11
.LBB44_17:                              ;   in Loop: Header=BB44_9 Depth=1
	s_or_b64 exec, exec, s[24:25]
.LBB44_18:                              ;   in Loop: Header=BB44_9 Depth=1
	s_or_b64 exec, exec, s[20:21]
	v_cmp_gt_i64_e32 vcc, s[18:19], v[9:10]
	s_and_saveexec_b64 s[4:5], vcc
	s_cbranch_execz .LBB44_8
; %bb.19:                               ;   in Loop: Header=BB44_9 Depth=1
	s_and_saveexec_b64 s[20:21], s[0:1]
	s_xor_b64 s[20:21], exec, s[20:21]
	s_cbranch_execz .LBB44_24
; %bb.20:                               ;   in Loop: Header=BB44_9 Depth=1
	s_mov_b64 s[24:25], -1
	s_and_b64 vcc, exec, s[16:17]
	s_cbranch_vccz .LBB44_22
; %bb.21:                               ;   in Loop: Header=BB44_9 Depth=1
	v_lshlrev_b64 v[13:14], 3, v[9:10]
	v_mul_f64 v[17:18], v[1:2], v[11:12]
	v_add_co_u32_e32 v13, vcc, v30, v13
	v_addc_co_u32_e32 v14, vcc, v31, v14, vcc
	global_load_dwordx2 v[15:16], v[13:14], off
	s_mov_b64 s[24:25], 0
	s_waitcnt vmcnt(0)
	v_fma_f64 v[15:16], v[3:4], v[15:16], v[17:18]
	global_store_dwordx2 v[13:14], v[15:16], off
.LBB44_22:                              ;   in Loop: Header=BB44_9 Depth=1
	s_andn2_b64 vcc, exec, s[24:25]
	s_cbranch_vccnz .LBB44_24
; %bb.23:                               ;   in Loop: Header=BB44_9 Depth=1
	v_mul_lo_u32 v13, v10, s22
	v_mul_lo_u32 v14, v9, s23
	v_mad_u64_u32 v[9:10], s[24:25], v9, s22, 0
	v_mul_f64 v[11:12], v[1:2], v[11:12]
	v_add3_u32 v10, v10, v14, v13
	v_lshlrev_b64 v[9:10], 3, v[9:10]
	v_add_co_u32_e32 v9, vcc, v26, v9
	v_addc_co_u32_e32 v10, vcc, v27, v10, vcc
	global_load_dwordx2 v[13:14], v[9:10], off
	s_waitcnt vmcnt(0)
	v_fma_f64 v[11:12], v[3:4], v[13:14], v[11:12]
	global_store_dwordx2 v[9:10], v[11:12], off
                                        ; implicit-def: $vgpr9_vgpr10
                                        ; implicit-def: $vgpr11_vgpr12
.LBB44_24:                              ;   in Loop: Header=BB44_9 Depth=1
	s_andn2_saveexec_b64 s[20:21], s[20:21]
	s_cbranch_execz .LBB44_8
; %bb.25:                               ;   in Loop: Header=BB44_9 Depth=1
	v_mul_f64 v[11:12], v[1:2], v[11:12]
	s_mov_b64 s[20:21], -1
	s_and_b64 vcc, exec, s[16:17]
	s_cbranch_vccz .LBB44_27
; %bb.26:                               ;   in Loop: Header=BB44_9 Depth=1
	v_lshlrev_b64 v[13:14], 3, v[9:10]
	s_mov_b64 s[20:21], 0
	v_add_co_u32_e32 v13, vcc, v30, v13
	v_addc_co_u32_e32 v14, vcc, v31, v14, vcc
	global_store_dwordx2 v[13:14], v[11:12], off
.LBB44_27:                              ;   in Loop: Header=BB44_9 Depth=1
	s_andn2_b64 vcc, exec, s[20:21]
	s_cbranch_vccnz .LBB44_8
; %bb.28:                               ;   in Loop: Header=BB44_9 Depth=1
	v_mul_lo_u32 v13, v10, s22
	v_mul_lo_u32 v14, v9, s23
	v_mad_u64_u32 v[9:10], s[20:21], v9, s22, 0
	v_add3_u32 v10, v10, v14, v13
	v_lshlrev_b64 v[9:10], 3, v[9:10]
	v_add_co_u32_e32 v9, vcc, v26, v9
	v_addc_co_u32_e32 v10, vcc, v27, v10, vcc
	global_store_dwordx2 v[9:10], v[11:12], off
	s_branch .LBB44_8
.LBB44_29:
	s_endpgm
	.section	.rodata,"a",@progbits
	.p2align	6, 0x0
	.amdhsa_kernel _ZN9rocsparseL29bsrmmnt_small_blockdim_kernelILj64ELj64ELj2EllddddEEv20rocsparse_direction_T3_S2_llNS_24const_host_device_scalarIT7_EEPKT2_PKS2_PKT4_PKT5_llS5_PT6_ll16rocsparse_order_21rocsparse_index_base_b
		.amdhsa_group_segment_fixed_size 2048
		.amdhsa_private_segment_fixed_size 0
		.amdhsa_kernarg_size 400
		.amdhsa_user_sgpr_count 6
		.amdhsa_user_sgpr_private_segment_buffer 1
		.amdhsa_user_sgpr_dispatch_ptr 0
		.amdhsa_user_sgpr_queue_ptr 0
		.amdhsa_user_sgpr_kernarg_segment_ptr 1
		.amdhsa_user_sgpr_dispatch_id 0
		.amdhsa_user_sgpr_flat_scratch_init 0
		.amdhsa_user_sgpr_private_segment_size 0
		.amdhsa_uses_dynamic_stack 0
		.amdhsa_system_sgpr_private_segment_wavefront_offset 0
		.amdhsa_system_sgpr_workgroup_id_x 1
		.amdhsa_system_sgpr_workgroup_id_y 0
		.amdhsa_system_sgpr_workgroup_id_z 0
		.amdhsa_system_sgpr_workgroup_info 0
		.amdhsa_system_vgpr_workitem_id 0
		.amdhsa_next_free_vgpr 44
		.amdhsa_next_free_sgpr 61
		.amdhsa_reserve_vcc 1
		.amdhsa_reserve_flat_scratch 0
		.amdhsa_float_round_mode_32 0
		.amdhsa_float_round_mode_16_64 0
		.amdhsa_float_denorm_mode_32 3
		.amdhsa_float_denorm_mode_16_64 3
		.amdhsa_dx10_clamp 1
		.amdhsa_ieee_mode 1
		.amdhsa_fp16_overflow 0
		.amdhsa_exception_fp_ieee_invalid_op 0
		.amdhsa_exception_fp_denorm_src 0
		.amdhsa_exception_fp_ieee_div_zero 0
		.amdhsa_exception_fp_ieee_overflow 0
		.amdhsa_exception_fp_ieee_underflow 0
		.amdhsa_exception_fp_ieee_inexact 0
		.amdhsa_exception_int_div_zero 0
	.end_amdhsa_kernel
	.section	.text._ZN9rocsparseL29bsrmmnt_small_blockdim_kernelILj64ELj64ELj2EllddddEEv20rocsparse_direction_T3_S2_llNS_24const_host_device_scalarIT7_EEPKT2_PKS2_PKT4_PKT5_llS5_PT6_ll16rocsparse_order_21rocsparse_index_base_b,"axG",@progbits,_ZN9rocsparseL29bsrmmnt_small_blockdim_kernelILj64ELj64ELj2EllddddEEv20rocsparse_direction_T3_S2_llNS_24const_host_device_scalarIT7_EEPKT2_PKS2_PKT4_PKT5_llS5_PT6_ll16rocsparse_order_21rocsparse_index_base_b,comdat
.Lfunc_end44:
	.size	_ZN9rocsparseL29bsrmmnt_small_blockdim_kernelILj64ELj64ELj2EllddddEEv20rocsparse_direction_T3_S2_llNS_24const_host_device_scalarIT7_EEPKT2_PKS2_PKT4_PKT5_llS5_PT6_ll16rocsparse_order_21rocsparse_index_base_b, .Lfunc_end44-_ZN9rocsparseL29bsrmmnt_small_blockdim_kernelILj64ELj64ELj2EllddddEEv20rocsparse_direction_T3_S2_llNS_24const_host_device_scalarIT7_EEPKT2_PKS2_PKT4_PKT5_llS5_PT6_ll16rocsparse_order_21rocsparse_index_base_b
                                        ; -- End function
	.set _ZN9rocsparseL29bsrmmnt_small_blockdim_kernelILj64ELj64ELj2EllddddEEv20rocsparse_direction_T3_S2_llNS_24const_host_device_scalarIT7_EEPKT2_PKS2_PKT4_PKT5_llS5_PT6_ll16rocsparse_order_21rocsparse_index_base_b.num_vgpr, 44
	.set _ZN9rocsparseL29bsrmmnt_small_blockdim_kernelILj64ELj64ELj2EllddddEEv20rocsparse_direction_T3_S2_llNS_24const_host_device_scalarIT7_EEPKT2_PKS2_PKT4_PKT5_llS5_PT6_ll16rocsparse_order_21rocsparse_index_base_b.num_agpr, 0
	.set _ZN9rocsparseL29bsrmmnt_small_blockdim_kernelILj64ELj64ELj2EllddddEEv20rocsparse_direction_T3_S2_llNS_24const_host_device_scalarIT7_EEPKT2_PKS2_PKT4_PKT5_llS5_PT6_ll16rocsparse_order_21rocsparse_index_base_b.numbered_sgpr, 31
	.set _ZN9rocsparseL29bsrmmnt_small_blockdim_kernelILj64ELj64ELj2EllddddEEv20rocsparse_direction_T3_S2_llNS_24const_host_device_scalarIT7_EEPKT2_PKS2_PKT4_PKT5_llS5_PT6_ll16rocsparse_order_21rocsparse_index_base_b.num_named_barrier, 0
	.set _ZN9rocsparseL29bsrmmnt_small_blockdim_kernelILj64ELj64ELj2EllddddEEv20rocsparse_direction_T3_S2_llNS_24const_host_device_scalarIT7_EEPKT2_PKS2_PKT4_PKT5_llS5_PT6_ll16rocsparse_order_21rocsparse_index_base_b.private_seg_size, 0
	.set _ZN9rocsparseL29bsrmmnt_small_blockdim_kernelILj64ELj64ELj2EllddddEEv20rocsparse_direction_T3_S2_llNS_24const_host_device_scalarIT7_EEPKT2_PKS2_PKT4_PKT5_llS5_PT6_ll16rocsparse_order_21rocsparse_index_base_b.uses_vcc, 1
	.set _ZN9rocsparseL29bsrmmnt_small_blockdim_kernelILj64ELj64ELj2EllddddEEv20rocsparse_direction_T3_S2_llNS_24const_host_device_scalarIT7_EEPKT2_PKS2_PKT4_PKT5_llS5_PT6_ll16rocsparse_order_21rocsparse_index_base_b.uses_flat_scratch, 0
	.set _ZN9rocsparseL29bsrmmnt_small_blockdim_kernelILj64ELj64ELj2EllddddEEv20rocsparse_direction_T3_S2_llNS_24const_host_device_scalarIT7_EEPKT2_PKS2_PKT4_PKT5_llS5_PT6_ll16rocsparse_order_21rocsparse_index_base_b.has_dyn_sized_stack, 0
	.set _ZN9rocsparseL29bsrmmnt_small_blockdim_kernelILj64ELj64ELj2EllddddEEv20rocsparse_direction_T3_S2_llNS_24const_host_device_scalarIT7_EEPKT2_PKS2_PKT4_PKT5_llS5_PT6_ll16rocsparse_order_21rocsparse_index_base_b.has_recursion, 0
	.set _ZN9rocsparseL29bsrmmnt_small_blockdim_kernelILj64ELj64ELj2EllddddEEv20rocsparse_direction_T3_S2_llNS_24const_host_device_scalarIT7_EEPKT2_PKS2_PKT4_PKT5_llS5_PT6_ll16rocsparse_order_21rocsparse_index_base_b.has_indirect_call, 0
	.section	.AMDGPU.csdata,"",@progbits
; Kernel info:
; codeLenInByte = 1408
; TotalNumSgprs: 35
; NumVgprs: 44
; ScratchSize: 0
; MemoryBound: 0
; FloatMode: 240
; IeeeMode: 1
; LDSByteSize: 2048 bytes/workgroup (compile time only)
; SGPRBlocks: 8
; VGPRBlocks: 10
; NumSGPRsForWavesPerEU: 65
; NumVGPRsForWavesPerEU: 44
; Occupancy: 5
; WaveLimiterHint : 1
; COMPUTE_PGM_RSRC2:SCRATCH_EN: 0
; COMPUTE_PGM_RSRC2:USER_SGPR: 6
; COMPUTE_PGM_RSRC2:TRAP_HANDLER: 0
; COMPUTE_PGM_RSRC2:TGID_X_EN: 1
; COMPUTE_PGM_RSRC2:TGID_Y_EN: 0
; COMPUTE_PGM_RSRC2:TGID_Z_EN: 0
; COMPUTE_PGM_RSRC2:TIDIG_COMP_CNT: 0
	.section	.text._ZN9rocsparseL29bsrmmnt_small_blockdim_kernelILj64ELj8ELj2Eii21rocsparse_complex_numIfES2_S2_S2_EEv20rocsparse_direction_T3_S4_llNS_24const_host_device_scalarIT7_EEPKT2_PKS4_PKT4_PKT5_llS7_PT6_ll16rocsparse_order_21rocsparse_index_base_b,"axG",@progbits,_ZN9rocsparseL29bsrmmnt_small_blockdim_kernelILj64ELj8ELj2Eii21rocsparse_complex_numIfES2_S2_S2_EEv20rocsparse_direction_T3_S4_llNS_24const_host_device_scalarIT7_EEPKT2_PKS4_PKT4_PKT5_llS7_PT6_ll16rocsparse_order_21rocsparse_index_base_b,comdat
	.globl	_ZN9rocsparseL29bsrmmnt_small_blockdim_kernelILj64ELj8ELj2Eii21rocsparse_complex_numIfES2_S2_S2_EEv20rocsparse_direction_T3_S4_llNS_24const_host_device_scalarIT7_EEPKT2_PKS4_PKT4_PKT5_llS7_PT6_ll16rocsparse_order_21rocsparse_index_base_b ; -- Begin function _ZN9rocsparseL29bsrmmnt_small_blockdim_kernelILj64ELj8ELj2Eii21rocsparse_complex_numIfES2_S2_S2_EEv20rocsparse_direction_T3_S4_llNS_24const_host_device_scalarIT7_EEPKT2_PKS4_PKT4_PKT5_llS7_PT6_ll16rocsparse_order_21rocsparse_index_base_b
	.p2align	8
	.type	_ZN9rocsparseL29bsrmmnt_small_blockdim_kernelILj64ELj8ELj2Eii21rocsparse_complex_numIfES2_S2_S2_EEv20rocsparse_direction_T3_S4_llNS_24const_host_device_scalarIT7_EEPKT2_PKS4_PKT4_PKT5_llS7_PT6_ll16rocsparse_order_21rocsparse_index_base_b,@function
_ZN9rocsparseL29bsrmmnt_small_blockdim_kernelILj64ELj8ELj2Eii21rocsparse_complex_numIfES2_S2_S2_EEv20rocsparse_direction_T3_S4_llNS_24const_host_device_scalarIT7_EEPKT2_PKS4_PKT4_PKT5_llS7_PT6_ll16rocsparse_order_21rocsparse_index_base_b: ; @_ZN9rocsparseL29bsrmmnt_small_blockdim_kernelILj64ELj8ELj2Eii21rocsparse_complex_numIfES2_S2_S2_EEv20rocsparse_direction_T3_S4_llNS_24const_host_device_scalarIT7_EEPKT2_PKS4_PKT4_PKT5_llS7_PT6_ll16rocsparse_order_21rocsparse_index_base_b
; %bb.0:
	s_load_dwordx2 s[0:1], s[4:5], 0x20
	s_load_dwordx2 s[2:3], s[4:5], 0x58
	s_load_dwordx4 s[16:19], s[4:5], 0x78
	s_add_u32 s7, s4, 32
	s_addc_u32 s8, s5, 0
	s_add_u32 s9, s4, 0x58
	s_addc_u32 s10, s5, 0
	s_waitcnt lgkmcnt(0)
	s_bitcmp1_b32 s18, 0
	s_cselect_b32 s1, s8, s1
	s_cselect_b32 s0, s7, s0
	v_mov_b32_e32 v1, s0
	v_mov_b32_e32 v2, s1
	flat_load_dwordx2 v[1:2], v[1:2]
	s_cselect_b32 s0, s10, s3
	s_cselect_b32 s1, s9, s2
	v_mov_b32_e32 v3, s1
	v_mov_b32_e32 v4, s0
	flat_load_dwordx2 v[3:4], v[3:4]
	s_waitcnt vmcnt(0) lgkmcnt(0)
	v_cmp_eq_f32_e32 vcc, 0, v1
	v_cmp_eq_f32_e64 s[0:1], 0, v2
	s_and_b64 s[8:9], vcc, s[0:1]
	s_mov_b64 s[0:1], -1
	s_and_saveexec_b64 s[2:3], s[8:9]
; %bb.1:
	v_cmp_neq_f32_e32 vcc, 1.0, v3
	v_cmp_neq_f32_e64 s[0:1], 0, v4
	s_or_b64 s[0:1], vcc, s[0:1]
	s_orn2_b64 s[0:1], s[0:1], exec
; %bb.2:
	s_or_b64 exec, exec, s[2:3]
	s_and_saveexec_b64 s[2:3], s[0:1]
	s_cbranch_execz .LBB45_27
; %bb.3:
	s_load_dword s0, s[4:5], 0x94
	s_load_dwordx4 s[20:23], s[4:5], 0x0
	s_waitcnt lgkmcnt(0)
	s_and_b32 s0, s0, 0xffff
	s_mul_i32 s6, s6, s0
	v_add_u32_e32 v5, s6, v0
	v_lshrrev_b32_e32 v6, 4, v5
	v_cmp_gt_i32_e32 vcc, s21, v6
	s_and_b64 exec, exec, vcc
	s_cbranch_execz .LBB45_27
; %bb.4:
	s_cmp_lt_i32 s22, 1
	s_cbranch_scc1 .LBB45_27
; %bb.5:
	s_load_dwordx8 s[8:15], s[4:5], 0x28
	v_lshlrev_b32_e32 v6, 2, v6
	v_bfe_u32 v9, v5, 3, 1
	s_cmp_eq_u32 s20, 0
	v_lshrrev_b32_e32 v11, 3, v5
	s_waitcnt lgkmcnt(0)
	global_load_dwordx2 v[7:8], v6, s[8:9]
	s_load_dwordx4 s[24:27], s[4:5], 0x60
	s_load_dwordx2 s[6:7], s[4:5], 0x48
	v_and_b32_e32 v15, 7, v0
	v_lshrrev_b32_e32 v10, 3, v0
	v_mov_b32_e32 v0, 0x600
	v_cmp_neq_f32_e32 vcc, 0, v3
	v_cmp_neq_f32_e64 s[0:1], 0, v4
	v_lshlrev_b32_e32 v13, 1, v9
	s_cselect_b64 s[2:3], -1, 0
	v_and_b32_e32 v12, -8, v5
	v_or_b32_e32 v5, 2, v9
	v_lshl_or_b32 v0, v10, 5, v0
	v_mul_u32_u24_e32 v16, 0xc0, v10
	s_or_b64 s[4:5], vcc, s[0:1]
	v_cndmask_b32_e64 v18, v9, v13, s[2:3]
	s_waitcnt lgkmcnt(0)
	v_mad_u64_u32 v[9:10], s[0:1], s26, v11, 0
	v_or_b32_e32 v19, 1, v13
	v_mov_b32_e32 v6, 0
	v_cndmask_b32_e64 v19, v5, v19, s[2:3]
	v_mov_b32_e32 v5, v10
	v_mad_u64_u32 v[10:11], s[0:1], s27, v11, v[5:6]
	v_mov_b32_e32 v21, s25
	v_add_co_u32_e32 v20, vcc, s24, v12
	v_lshlrev_b64 v[9:10], 3, v[9:10]
	v_addc_co_u32_e32 v21, vcc, 0, v21, vcc
	v_mul_u32_u24_e32 v14, 24, v15
	s_cmp_lg_u32 s16, 1
	v_mov_b32_e32 v13, s25
	v_add_co_u32_e32 v22, vcc, s24, v9
	s_mov_b32 s23, 0
	v_lshl_or_b32 v17, v15, 2, v0
	s_cselect_b64 s[8:9], -1, 0
	v_addc_co_u32_e32 v23, vcc, v13, v10, vcc
	v_add_u32_e32 v26, v16, v14
	s_waitcnt vmcnt(0)
	v_subrev_u32_e32 v24, s17, v7
	v_subrev_u32_e32 v25, s17, v8
	v_cmp_lt_i32_e64 s[0:1], v7, v8
	s_branch .LBB45_7
.LBB45_6:                               ;   in Loop: Header=BB45_7 Depth=1
	s_or_b64 exec, exec, s[2:3]
	s_add_i32 s23, s23, 8
	s_cmp_lt_i32 s23, s22
	s_cbranch_scc0 .LBB45_27
.LBB45_7:                               ; =>This Loop Header: Depth=1
                                        ;     Child Loop BB45_10 Depth 2
                                        ;       Child Loop BB45_14 Depth 3
	v_or_b32_e32 v7, s23, v15
	v_ashrrev_i32_e32 v8, 31, v7
	v_mov_b32_e32 v27, v6
	v_mov_b32_e32 v31, v6
	s_and_saveexec_b64 s[18:19], s[0:1]
	s_cbranch_execz .LBB45_16
; %bb.8:                                ;   in Loop: Header=BB45_7 Depth=1
	v_lshlrev_b64 v[9:10], 3, v[7:8]
	v_mov_b32_e32 v5, s15
	v_add_co_u32_e64 v28, s[2:3], s14, v9
	v_cmp_gt_i32_e32 vcc, s22, v7
	v_addc_co_u32_e64 v29, s[2:3], v5, v10, s[2:3]
	v_mov_b32_e32 v27, 0
	s_mov_b64 s[20:21], 0
	v_mov_b32_e32 v30, v24
	v_mov_b32_e32 v31, 0
	s_branch .LBB45_10
.LBB45_9:                               ;   in Loop: Header=BB45_10 Depth=2
	s_or_b64 exec, exec, s[24:25]
	v_add_u32_e32 v30, 8, v30
	v_cmp_ge_i32_e64 s[2:3], v30, v25
	s_or_b64 s[20:21], s[2:3], s[20:21]
	s_andn2_b64 exec, exec, s[20:21]
	s_cbranch_execz .LBB45_15
.LBB45_10:                              ;   Parent Loop BB45_7 Depth=1
                                        ; =>  This Loop Header: Depth=2
                                        ;       Child Loop BB45_14 Depth 3
	v_add_u32_e32 v13, v30, v15
	v_cmp_lt_i32_e64 s[2:3], v13, v25
	v_mov_b32_e32 v5, 0
	v_mov_b32_e32 v9, 0
	;; [unrolled: 1-line block ×5, first 2 shown]
	s_and_saveexec_b64 s[24:25], s[2:3]
	s_cbranch_execz .LBB45_12
; %bb.11:                               ;   in Loop: Header=BB45_10 Depth=2
	v_ashrrev_i32_e32 v14, 31, v13
	v_lshlrev_b64 v[9:10], 2, v[13:14]
	v_mov_b32_e32 v5, s11
	v_add_co_u32_e64 v9, s[2:3], s10, v9
	v_lshlrev_b32_e32 v11, 2, v13
	v_addc_co_u32_e64 v10, s[2:3], v5, v10, s[2:3]
	v_or_b32_e32 v5, v11, v18
	global_load_dword v34, v[9:10], off
	v_lshlrev_b64 v[9:10], 3, v[5:6]
	v_mov_b32_e32 v5, s13
	v_add_co_u32_e64 v13, s[2:3], s12, v9
	v_addc_co_u32_e64 v14, s[2:3], v5, v10, s[2:3]
	v_or_b32_e32 v5, v11, v19
	v_lshlrev_b64 v[9:10], 3, v[5:6]
	v_mov_b32_e32 v5, s13
	v_add_co_u32_e64 v32, s[2:3], s12, v9
	v_addc_co_u32_e64 v33, s[2:3], v5, v10, s[2:3]
	global_load_dwordx2 v[9:10], v[13:14], off
	global_load_dwordx2 v[11:12], v[32:33], off
	s_waitcnt vmcnt(2)
	v_subrev_u32_e32 v5, s17, v34
	v_lshlrev_b32_e32 v5, 1, v5
.LBB45_12:                              ;   in Loop: Header=BB45_10 Depth=2
	s_or_b64 exec, exec, s[24:25]
	ds_write_b32 v17, v5
	s_waitcnt vmcnt(0)
	ds_write2_b64 v26, v[9:10], v[11:12] offset1:1
	s_waitcnt lgkmcnt(0)
	; wave barrier
	s_and_saveexec_b64 s[24:25], vcc
	s_cbranch_execz .LBB45_9
; %bb.13:                               ;   in Loop: Header=BB45_10 Depth=2
	s_mov_b32 s16, 0
	v_mov_b32_e32 v5, v16
.LBB45_14:                              ;   Parent Loop BB45_7 Depth=1
                                        ;     Parent Loop BB45_10 Depth=2
                                        ; =>    This Inner Loop Header: Depth=3
	v_add_u32_e32 v9, s16, v0
	ds_read_b64 v[13:14], v9
	s_add_i32 s16, s16, 8
	s_cmp_lg_u32 s16, 32
	s_waitcnt lgkmcnt(0)
	v_ashrrev_i32_e32 v9, 31, v13
	v_mul_lo_u32 v11, s6, v9
	v_mul_lo_u32 v12, s7, v13
	v_mad_u64_u32 v[9:10], s[2:3], s6, v13, 0
	v_add3_u32 v10, v10, v11, v12
	v_lshlrev_b64 v[9:10], 3, v[9:10]
	v_add_co_u32_e64 v9, s[2:3], v28, v9
	v_addc_co_u32_e64 v10, s[2:3], v29, v10, s[2:3]
	global_load_dwordx2 v[32:33], v[9:10], off
	ds_read_b128 v[9:12], v5
	s_waitcnt vmcnt(0) lgkmcnt(0)
	v_fmac_f32_e32 v27, v10, v32
	v_fmac_f32_e32 v31, v9, v32
	;; [unrolled: 1-line block ×3, first 2 shown]
	v_add_u32_e32 v9, 1, v13
	v_fma_f32 v31, -v10, v33, v31
	v_ashrrev_i32_e32 v10, 31, v9
	v_mul_lo_u32 v13, s6, v10
	v_mul_lo_u32 v32, s7, v9
	v_mad_u64_u32 v[9:10], s[2:3], s6, v9, 0
	v_add3_u32 v10, v10, v13, v32
	v_lshlrev_b64 v[9:10], 3, v[9:10]
	v_add_co_u32_e64 v9, s[2:3], v28, v9
	v_addc_co_u32_e64 v10, s[2:3], v29, v10, s[2:3]
	global_load_dwordx2 v[9:10], v[9:10], off
	s_waitcnt vmcnt(0)
	v_fmac_f32_e32 v31, v11, v9
	v_fmac_f32_e32 v27, v12, v9
	v_ashrrev_i32_e32 v9, 31, v14
	v_fma_f32 v13, -v12, v10, v31
	v_fmac_f32_e32 v27, v11, v10
	v_mul_lo_u32 v11, s6, v9
	v_mul_lo_u32 v12, s7, v14
	v_mad_u64_u32 v[9:10], s[2:3], s6, v14, 0
	v_add3_u32 v10, v10, v11, v12
	v_lshlrev_b64 v[9:10], 3, v[9:10]
	v_add_co_u32_e64 v9, s[2:3], v28, v9
	v_addc_co_u32_e64 v10, s[2:3], v29, v10, s[2:3]
	global_load_dwordx2 v[31:32], v[9:10], off
	ds_read2_b64 v[9:12], v5 offset0:3 offset1:4
	v_add_u32_e32 v5, 48, v5
	s_waitcnt vmcnt(0) lgkmcnt(0)
	v_fmac_f32_e32 v27, v10, v31
	v_fmac_f32_e32 v13, v9, v31
	;; [unrolled: 1-line block ×3, first 2 shown]
	v_add_u32_e32 v9, 1, v14
	v_fma_f32 v13, -v10, v32, v13
	v_ashrrev_i32_e32 v10, 31, v9
	v_mul_lo_u32 v14, s6, v10
	v_mul_lo_u32 v31, s7, v9
	v_mad_u64_u32 v[9:10], s[2:3], s6, v9, 0
	v_add3_u32 v10, v10, v14, v31
	v_lshlrev_b64 v[9:10], 3, v[9:10]
	v_add_co_u32_e64 v9, s[2:3], v28, v9
	v_addc_co_u32_e64 v10, s[2:3], v29, v10, s[2:3]
	global_load_dwordx2 v[9:10], v[9:10], off
	s_waitcnt vmcnt(0)
	v_fmac_f32_e32 v13, v11, v9
	v_fmac_f32_e32 v27, v12, v9
	v_fma_f32 v31, -v12, v10, v13
	v_fmac_f32_e32 v27, v11, v10
	s_cbranch_scc1 .LBB45_14
	s_branch .LBB45_9
.LBB45_15:                              ;   in Loop: Header=BB45_7 Depth=1
	s_or_b64 exec, exec, s[20:21]
.LBB45_16:                              ;   in Loop: Header=BB45_7 Depth=1
	s_or_b64 exec, exec, s[18:19]
	v_cmp_gt_i32_e32 vcc, s22, v7
	s_and_saveexec_b64 s[2:3], vcc
	s_cbranch_execz .LBB45_6
; %bb.17:                               ;   in Loop: Header=BB45_7 Depth=1
	s_and_saveexec_b64 s[18:19], s[4:5]
	s_xor_b64 s[18:19], exec, s[18:19]
	s_cbranch_execz .LBB45_22
; %bb.18:                               ;   in Loop: Header=BB45_7 Depth=1
	s_mov_b64 s[20:21], -1
	s_and_b64 vcc, exec, s[8:9]
	s_cbranch_vccz .LBB45_20
; %bb.19:                               ;   in Loop: Header=BB45_7 Depth=1
	v_lshlrev_b64 v[9:10], 3, v[7:8]
	v_mul_f32_e64 v5, v27, -v2
	v_add_co_u32_e32 v9, vcc, v22, v9
	v_addc_co_u32_e32 v10, vcc, v23, v10, vcc
	global_load_dwordx2 v[11:12], v[9:10], off
	v_mul_f32_e32 v14, v1, v27
	v_fmac_f32_e32 v5, v1, v31
	v_fmac_f32_e32 v14, v2, v31
	s_mov_b64 s[20:21], 0
	s_waitcnt vmcnt(0)
	v_fmac_f32_e32 v5, v3, v11
	v_fmac_f32_e32 v14, v4, v11
	v_fma_f32 v13, -v4, v12, v5
	v_fmac_f32_e32 v14, v3, v12
	global_store_dwordx2 v[9:10], v[13:14], off
.LBB45_20:                              ;   in Loop: Header=BB45_7 Depth=1
	s_andn2_b64 vcc, exec, s[20:21]
	s_cbranch_vccnz .LBB45_22
; %bb.21:                               ;   in Loop: Header=BB45_7 Depth=1
	v_mul_lo_u32 v5, s27, v7
	v_mul_lo_u32 v9, s26, v8
	v_mad_u64_u32 v[7:8], s[20:21], s26, v7, 0
	v_mul_f32_e32 v12, v1, v27
	v_fmac_f32_e32 v12, v2, v31
	v_add3_u32 v8, v8, v9, v5
	v_lshlrev_b64 v[7:8], 3, v[7:8]
	v_mul_f32_e64 v5, v27, -v2
	v_add_co_u32_e32 v7, vcc, v20, v7
	v_addc_co_u32_e32 v8, vcc, v21, v8, vcc
	global_load_dwordx2 v[9:10], v[7:8], off
	v_fmac_f32_e32 v5, v1, v31
                                        ; implicit-def: $vgpr27
                                        ; implicit-def: $vgpr31
	s_waitcnt vmcnt(0)
	v_fmac_f32_e32 v5, v3, v9
	v_fmac_f32_e32 v12, v4, v9
	v_fma_f32 v11, -v4, v10, v5
	v_fmac_f32_e32 v12, v3, v10
	global_store_dwordx2 v[7:8], v[11:12], off
                                        ; implicit-def: $vgpr7
.LBB45_22:                              ;   in Loop: Header=BB45_7 Depth=1
	s_andn2_saveexec_b64 s[18:19], s[18:19]
	s_cbranch_execz .LBB45_6
; %bb.23:                               ;   in Loop: Header=BB45_7 Depth=1
	v_mul_f32_e64 v9, v27, -v2
	v_mul_f32_e32 v10, v1, v27
	v_fmac_f32_e32 v9, v1, v31
	v_fmac_f32_e32 v10, v2, v31
	s_mov_b64 s[18:19], -1
	s_and_b64 vcc, exec, s[8:9]
	s_cbranch_vccz .LBB45_25
; %bb.24:                               ;   in Loop: Header=BB45_7 Depth=1
	v_lshlrev_b64 v[11:12], 3, v[7:8]
	s_mov_b64 s[18:19], 0
	v_add_co_u32_e32 v11, vcc, v22, v11
	v_addc_co_u32_e32 v12, vcc, v23, v12, vcc
	global_store_dwordx2 v[11:12], v[9:10], off
.LBB45_25:                              ;   in Loop: Header=BB45_7 Depth=1
	s_andn2_b64 vcc, exec, s[18:19]
	s_cbranch_vccnz .LBB45_6
; %bb.26:                               ;   in Loop: Header=BB45_7 Depth=1
	v_mul_lo_u32 v5, s27, v7
	v_mul_lo_u32 v11, s26, v8
	v_mad_u64_u32 v[7:8], s[18:19], s26, v7, 0
	v_add3_u32 v8, v8, v11, v5
	v_lshlrev_b64 v[7:8], 3, v[7:8]
	v_add_co_u32_e32 v7, vcc, v20, v7
	v_addc_co_u32_e32 v8, vcc, v21, v8, vcc
	global_store_dwordx2 v[7:8], v[9:10], off
	s_branch .LBB45_6
.LBB45_27:
	s_endpgm
	.section	.rodata,"a",@progbits
	.p2align	6, 0x0
	.amdhsa_kernel _ZN9rocsparseL29bsrmmnt_small_blockdim_kernelILj64ELj8ELj2Eii21rocsparse_complex_numIfES2_S2_S2_EEv20rocsparse_direction_T3_S4_llNS_24const_host_device_scalarIT7_EEPKT2_PKS4_PKT4_PKT5_llS7_PT6_ll16rocsparse_order_21rocsparse_index_base_b
		.amdhsa_group_segment_fixed_size 1792
		.amdhsa_private_segment_fixed_size 0
		.amdhsa_kernarg_size 392
		.amdhsa_user_sgpr_count 6
		.amdhsa_user_sgpr_private_segment_buffer 1
		.amdhsa_user_sgpr_dispatch_ptr 0
		.amdhsa_user_sgpr_queue_ptr 0
		.amdhsa_user_sgpr_kernarg_segment_ptr 1
		.amdhsa_user_sgpr_dispatch_id 0
		.amdhsa_user_sgpr_flat_scratch_init 0
		.amdhsa_user_sgpr_private_segment_size 0
		.amdhsa_uses_dynamic_stack 0
		.amdhsa_system_sgpr_private_segment_wavefront_offset 0
		.amdhsa_system_sgpr_workgroup_id_x 1
		.amdhsa_system_sgpr_workgroup_id_y 0
		.amdhsa_system_sgpr_workgroup_id_z 0
		.amdhsa_system_sgpr_workgroup_info 0
		.amdhsa_system_vgpr_workitem_id 0
		.amdhsa_next_free_vgpr 35
		.amdhsa_next_free_sgpr 61
		.amdhsa_reserve_vcc 1
		.amdhsa_reserve_flat_scratch 0
		.amdhsa_float_round_mode_32 0
		.amdhsa_float_round_mode_16_64 0
		.amdhsa_float_denorm_mode_32 3
		.amdhsa_float_denorm_mode_16_64 3
		.amdhsa_dx10_clamp 1
		.amdhsa_ieee_mode 1
		.amdhsa_fp16_overflow 0
		.amdhsa_exception_fp_ieee_invalid_op 0
		.amdhsa_exception_fp_denorm_src 0
		.amdhsa_exception_fp_ieee_div_zero 0
		.amdhsa_exception_fp_ieee_overflow 0
		.amdhsa_exception_fp_ieee_underflow 0
		.amdhsa_exception_fp_ieee_inexact 0
		.amdhsa_exception_int_div_zero 0
	.end_amdhsa_kernel
	.section	.text._ZN9rocsparseL29bsrmmnt_small_blockdim_kernelILj64ELj8ELj2Eii21rocsparse_complex_numIfES2_S2_S2_EEv20rocsparse_direction_T3_S4_llNS_24const_host_device_scalarIT7_EEPKT2_PKS4_PKT4_PKT5_llS7_PT6_ll16rocsparse_order_21rocsparse_index_base_b,"axG",@progbits,_ZN9rocsparseL29bsrmmnt_small_blockdim_kernelILj64ELj8ELj2Eii21rocsparse_complex_numIfES2_S2_S2_EEv20rocsparse_direction_T3_S4_llNS_24const_host_device_scalarIT7_EEPKT2_PKS4_PKT4_PKT5_llS7_PT6_ll16rocsparse_order_21rocsparse_index_base_b,comdat
.Lfunc_end45:
	.size	_ZN9rocsparseL29bsrmmnt_small_blockdim_kernelILj64ELj8ELj2Eii21rocsparse_complex_numIfES2_S2_S2_EEv20rocsparse_direction_T3_S4_llNS_24const_host_device_scalarIT7_EEPKT2_PKS4_PKT4_PKT5_llS7_PT6_ll16rocsparse_order_21rocsparse_index_base_b, .Lfunc_end45-_ZN9rocsparseL29bsrmmnt_small_blockdim_kernelILj64ELj8ELj2Eii21rocsparse_complex_numIfES2_S2_S2_EEv20rocsparse_direction_T3_S4_llNS_24const_host_device_scalarIT7_EEPKT2_PKS4_PKT4_PKT5_llS7_PT6_ll16rocsparse_order_21rocsparse_index_base_b
                                        ; -- End function
	.set _ZN9rocsparseL29bsrmmnt_small_blockdim_kernelILj64ELj8ELj2Eii21rocsparse_complex_numIfES2_S2_S2_EEv20rocsparse_direction_T3_S4_llNS_24const_host_device_scalarIT7_EEPKT2_PKS4_PKT4_PKT5_llS7_PT6_ll16rocsparse_order_21rocsparse_index_base_b.num_vgpr, 35
	.set _ZN9rocsparseL29bsrmmnt_small_blockdim_kernelILj64ELj8ELj2Eii21rocsparse_complex_numIfES2_S2_S2_EEv20rocsparse_direction_T3_S4_llNS_24const_host_device_scalarIT7_EEPKT2_PKS4_PKT4_PKT5_llS7_PT6_ll16rocsparse_order_21rocsparse_index_base_b.num_agpr, 0
	.set _ZN9rocsparseL29bsrmmnt_small_blockdim_kernelILj64ELj8ELj2Eii21rocsparse_complex_numIfES2_S2_S2_EEv20rocsparse_direction_T3_S4_llNS_24const_host_device_scalarIT7_EEPKT2_PKS4_PKT4_PKT5_llS7_PT6_ll16rocsparse_order_21rocsparse_index_base_b.numbered_sgpr, 28
	.set _ZN9rocsparseL29bsrmmnt_small_blockdim_kernelILj64ELj8ELj2Eii21rocsparse_complex_numIfES2_S2_S2_EEv20rocsparse_direction_T3_S4_llNS_24const_host_device_scalarIT7_EEPKT2_PKS4_PKT4_PKT5_llS7_PT6_ll16rocsparse_order_21rocsparse_index_base_b.num_named_barrier, 0
	.set _ZN9rocsparseL29bsrmmnt_small_blockdim_kernelILj64ELj8ELj2Eii21rocsparse_complex_numIfES2_S2_S2_EEv20rocsparse_direction_T3_S4_llNS_24const_host_device_scalarIT7_EEPKT2_PKS4_PKT4_PKT5_llS7_PT6_ll16rocsparse_order_21rocsparse_index_base_b.private_seg_size, 0
	.set _ZN9rocsparseL29bsrmmnt_small_blockdim_kernelILj64ELj8ELj2Eii21rocsparse_complex_numIfES2_S2_S2_EEv20rocsparse_direction_T3_S4_llNS_24const_host_device_scalarIT7_EEPKT2_PKS4_PKT4_PKT5_llS7_PT6_ll16rocsparse_order_21rocsparse_index_base_b.uses_vcc, 1
	.set _ZN9rocsparseL29bsrmmnt_small_blockdim_kernelILj64ELj8ELj2Eii21rocsparse_complex_numIfES2_S2_S2_EEv20rocsparse_direction_T3_S4_llNS_24const_host_device_scalarIT7_EEPKT2_PKS4_PKT4_PKT5_llS7_PT6_ll16rocsparse_order_21rocsparse_index_base_b.uses_flat_scratch, 0
	.set _ZN9rocsparseL29bsrmmnt_small_blockdim_kernelILj64ELj8ELj2Eii21rocsparse_complex_numIfES2_S2_S2_EEv20rocsparse_direction_T3_S4_llNS_24const_host_device_scalarIT7_EEPKT2_PKS4_PKT4_PKT5_llS7_PT6_ll16rocsparse_order_21rocsparse_index_base_b.has_dyn_sized_stack, 0
	.set _ZN9rocsparseL29bsrmmnt_small_blockdim_kernelILj64ELj8ELj2Eii21rocsparse_complex_numIfES2_S2_S2_EEv20rocsparse_direction_T3_S4_llNS_24const_host_device_scalarIT7_EEPKT2_PKS4_PKT4_PKT5_llS7_PT6_ll16rocsparse_order_21rocsparse_index_base_b.has_recursion, 0
	.set _ZN9rocsparseL29bsrmmnt_small_blockdim_kernelILj64ELj8ELj2Eii21rocsparse_complex_numIfES2_S2_S2_EEv20rocsparse_direction_T3_S4_llNS_24const_host_device_scalarIT7_EEPKT2_PKS4_PKT4_PKT5_llS7_PT6_ll16rocsparse_order_21rocsparse_index_base_b.has_indirect_call, 0
	.section	.AMDGPU.csdata,"",@progbits
; Kernel info:
; codeLenInByte = 1620
; TotalNumSgprs: 32
; NumVgprs: 35
; ScratchSize: 0
; MemoryBound: 0
; FloatMode: 240
; IeeeMode: 1
; LDSByteSize: 1792 bytes/workgroup (compile time only)
; SGPRBlocks: 8
; VGPRBlocks: 8
; NumSGPRsForWavesPerEU: 65
; NumVGPRsForWavesPerEU: 35
; Occupancy: 7
; WaveLimiterHint : 0
; COMPUTE_PGM_RSRC2:SCRATCH_EN: 0
; COMPUTE_PGM_RSRC2:USER_SGPR: 6
; COMPUTE_PGM_RSRC2:TRAP_HANDLER: 0
; COMPUTE_PGM_RSRC2:TGID_X_EN: 1
; COMPUTE_PGM_RSRC2:TGID_Y_EN: 0
; COMPUTE_PGM_RSRC2:TGID_Z_EN: 0
; COMPUTE_PGM_RSRC2:TIDIG_COMP_CNT: 0
	.section	.text._ZN9rocsparseL29bsrmmnt_small_blockdim_kernelILj64ELj16ELj2Eii21rocsparse_complex_numIfES2_S2_S2_EEv20rocsparse_direction_T3_S4_llNS_24const_host_device_scalarIT7_EEPKT2_PKS4_PKT4_PKT5_llS7_PT6_ll16rocsparse_order_21rocsparse_index_base_b,"axG",@progbits,_ZN9rocsparseL29bsrmmnt_small_blockdim_kernelILj64ELj16ELj2Eii21rocsparse_complex_numIfES2_S2_S2_EEv20rocsparse_direction_T3_S4_llNS_24const_host_device_scalarIT7_EEPKT2_PKS4_PKT4_PKT5_llS7_PT6_ll16rocsparse_order_21rocsparse_index_base_b,comdat
	.globl	_ZN9rocsparseL29bsrmmnt_small_blockdim_kernelILj64ELj16ELj2Eii21rocsparse_complex_numIfES2_S2_S2_EEv20rocsparse_direction_T3_S4_llNS_24const_host_device_scalarIT7_EEPKT2_PKS4_PKT4_PKT5_llS7_PT6_ll16rocsparse_order_21rocsparse_index_base_b ; -- Begin function _ZN9rocsparseL29bsrmmnt_small_blockdim_kernelILj64ELj16ELj2Eii21rocsparse_complex_numIfES2_S2_S2_EEv20rocsparse_direction_T3_S4_llNS_24const_host_device_scalarIT7_EEPKT2_PKS4_PKT4_PKT5_llS7_PT6_ll16rocsparse_order_21rocsparse_index_base_b
	.p2align	8
	.type	_ZN9rocsparseL29bsrmmnt_small_blockdim_kernelILj64ELj16ELj2Eii21rocsparse_complex_numIfES2_S2_S2_EEv20rocsparse_direction_T3_S4_llNS_24const_host_device_scalarIT7_EEPKT2_PKS4_PKT4_PKT5_llS7_PT6_ll16rocsparse_order_21rocsparse_index_base_b,@function
_ZN9rocsparseL29bsrmmnt_small_blockdim_kernelILj64ELj16ELj2Eii21rocsparse_complex_numIfES2_S2_S2_EEv20rocsparse_direction_T3_S4_llNS_24const_host_device_scalarIT7_EEPKT2_PKS4_PKT4_PKT5_llS7_PT6_ll16rocsparse_order_21rocsparse_index_base_b: ; @_ZN9rocsparseL29bsrmmnt_small_blockdim_kernelILj64ELj16ELj2Eii21rocsparse_complex_numIfES2_S2_S2_EEv20rocsparse_direction_T3_S4_llNS_24const_host_device_scalarIT7_EEPKT2_PKS4_PKT4_PKT5_llS7_PT6_ll16rocsparse_order_21rocsparse_index_base_b
; %bb.0:
	s_load_dwordx2 s[0:1], s[4:5], 0x20
	s_load_dwordx2 s[2:3], s[4:5], 0x58
	s_load_dwordx4 s[16:19], s[4:5], 0x78
	s_add_u32 s7, s4, 32
	s_addc_u32 s8, s5, 0
	s_add_u32 s9, s4, 0x58
	s_addc_u32 s10, s5, 0
	s_waitcnt lgkmcnt(0)
	s_bitcmp1_b32 s18, 0
	s_cselect_b32 s1, s8, s1
	s_cselect_b32 s0, s7, s0
	v_mov_b32_e32 v1, s0
	v_mov_b32_e32 v2, s1
	flat_load_dwordx2 v[1:2], v[1:2]
	s_cselect_b32 s0, s10, s3
	s_cselect_b32 s1, s9, s2
	v_mov_b32_e32 v3, s1
	v_mov_b32_e32 v4, s0
	flat_load_dwordx2 v[3:4], v[3:4]
	s_waitcnt vmcnt(0) lgkmcnt(0)
	v_cmp_eq_f32_e32 vcc, 0, v1
	v_cmp_eq_f32_e64 s[0:1], 0, v2
	s_and_b64 s[8:9], vcc, s[0:1]
	s_mov_b64 s[0:1], -1
	s_and_saveexec_b64 s[2:3], s[8:9]
; %bb.1:
	v_cmp_neq_f32_e32 vcc, 1.0, v3
	v_cmp_neq_f32_e64 s[0:1], 0, v4
	s_or_b64 s[0:1], vcc, s[0:1]
	s_orn2_b64 s[0:1], s[0:1], exec
; %bb.2:
	s_or_b64 exec, exec, s[2:3]
	s_and_saveexec_b64 s[2:3], s[0:1]
	s_cbranch_execz .LBB46_27
; %bb.3:
	s_load_dword s0, s[4:5], 0x94
	s_load_dwordx4 s[20:23], s[4:5], 0x0
	s_waitcnt lgkmcnt(0)
	s_and_b32 s0, s0, 0xffff
	s_mul_i32 s6, s6, s0
	v_add_u32_e32 v5, s6, v0
	v_lshrrev_b32_e32 v6, 5, v5
	v_cmp_gt_i32_e32 vcc, s21, v6
	s_and_b64 exec, exec, vcc
	s_cbranch_execz .LBB46_27
; %bb.4:
	s_cmp_lt_i32 s22, 1
	s_cbranch_scc1 .LBB46_27
; %bb.5:
	s_load_dwordx8 s[8:15], s[4:5], 0x28
	v_lshlrev_b32_e32 v6, 2, v6
	v_lshrrev_b32_e32 v11, 4, v5
	v_bfe_u32 v5, v5, 4, 1
	s_cmp_eq_u32 s20, 0
	s_waitcnt lgkmcnt(0)
	global_load_dwordx2 v[7:8], v6, s[8:9]
	s_load_dwordx4 s[24:27], s[4:5], 0x60
	s_load_dwordx2 s[6:7], s[4:5], 0x48
	v_and_b32_e32 v15, 15, v0
	v_lshrrev_b32_e32 v9, 4, v0
	v_mov_b32_e32 v0, 0x600
	v_cmp_neq_f32_e32 vcc, 0, v3
	v_cmp_neq_f32_e64 s[0:1], 0, v4
	v_lshlrev_b32_e32 v10, 1, v5
	s_cselect_b64 s[2:3], -1, 0
	v_lshl_or_b32 v0, v9, 6, v0
	v_mul_u32_u24_e32 v16, 0x180, v9
	s_or_b64 s[4:5], vcc, s[0:1]
	v_or_b32_e32 v19, 1, v10
	v_cndmask_b32_e64 v18, v5, v10, s[2:3]
	s_waitcnt lgkmcnt(0)
	v_mad_u64_u32 v[9:10], s[0:1], s26, v11, 0
	v_mov_b32_e32 v6, 0
	v_or_b32_e32 v12, 2, v5
	v_mov_b32_e32 v5, v10
	v_lshlrev_b32_e32 v14, 3, v11
	v_mad_u64_u32 v[10:11], s[0:1], s27, v11, v[5:6]
	v_mov_b32_e32 v21, s25
	v_add_co_u32_e32 v20, vcc, s24, v14
	v_lshlrev_b64 v[9:10], 3, v[9:10]
	v_addc_co_u32_e32 v21, vcc, 0, v21, vcc
	v_mul_u32_u24_e32 v13, 24, v15
	s_cmp_lg_u32 s16, 1
	v_cndmask_b32_e64 v19, v12, v19, s[2:3]
	v_mov_b32_e32 v12, s25
	v_add_co_u32_e32 v22, vcc, s24, v9
	s_mov_b32 s23, 0
	v_lshl_or_b32 v17, v15, 2, v0
	s_cselect_b64 s[8:9], -1, 0
	v_addc_co_u32_e32 v23, vcc, v12, v10, vcc
	v_add_u32_e32 v26, v16, v13
	s_waitcnt vmcnt(0)
	v_subrev_u32_e32 v24, s17, v7
	v_subrev_u32_e32 v25, s17, v8
	v_cmp_lt_i32_e64 s[0:1], v7, v8
	s_branch .LBB46_7
.LBB46_6:                               ;   in Loop: Header=BB46_7 Depth=1
	s_or_b64 exec, exec, s[2:3]
	s_add_i32 s23, s23, 16
	s_cmp_lt_i32 s23, s22
	s_cbranch_scc0 .LBB46_27
.LBB46_7:                               ; =>This Loop Header: Depth=1
                                        ;     Child Loop BB46_10 Depth 2
                                        ;       Child Loop BB46_14 Depth 3
	v_or_b32_e32 v7, s23, v15
	v_ashrrev_i32_e32 v8, 31, v7
	v_mov_b32_e32 v27, v6
	v_mov_b32_e32 v31, v6
	s_and_saveexec_b64 s[18:19], s[0:1]
	s_cbranch_execz .LBB46_16
; %bb.8:                                ;   in Loop: Header=BB46_7 Depth=1
	v_lshlrev_b64 v[9:10], 3, v[7:8]
	v_mov_b32_e32 v5, s15
	v_add_co_u32_e64 v28, s[2:3], s14, v9
	v_cmp_gt_i32_e32 vcc, s22, v7
	v_addc_co_u32_e64 v29, s[2:3], v5, v10, s[2:3]
	v_mov_b32_e32 v27, 0
	s_mov_b64 s[20:21], 0
	v_mov_b32_e32 v30, v24
	v_mov_b32_e32 v31, 0
	s_branch .LBB46_10
.LBB46_9:                               ;   in Loop: Header=BB46_10 Depth=2
	s_or_b64 exec, exec, s[24:25]
	v_add_u32_e32 v30, 16, v30
	v_cmp_ge_i32_e64 s[2:3], v30, v25
	s_or_b64 s[20:21], s[2:3], s[20:21]
	s_andn2_b64 exec, exec, s[20:21]
	s_cbranch_execz .LBB46_15
.LBB46_10:                              ;   Parent Loop BB46_7 Depth=1
                                        ; =>  This Loop Header: Depth=2
                                        ;       Child Loop BB46_14 Depth 3
	v_add_u32_e32 v13, v30, v15
	v_cmp_lt_i32_e64 s[2:3], v13, v25
	v_mov_b32_e32 v5, 0
	v_mov_b32_e32 v9, 0
	;; [unrolled: 1-line block ×5, first 2 shown]
	s_and_saveexec_b64 s[24:25], s[2:3]
	s_cbranch_execz .LBB46_12
; %bb.11:                               ;   in Loop: Header=BB46_10 Depth=2
	v_ashrrev_i32_e32 v14, 31, v13
	v_lshlrev_b64 v[9:10], 2, v[13:14]
	v_mov_b32_e32 v5, s11
	v_add_co_u32_e64 v9, s[2:3], s10, v9
	v_lshlrev_b32_e32 v11, 2, v13
	v_addc_co_u32_e64 v10, s[2:3], v5, v10, s[2:3]
	v_or_b32_e32 v5, v11, v18
	global_load_dword v34, v[9:10], off
	v_lshlrev_b64 v[9:10], 3, v[5:6]
	v_mov_b32_e32 v5, s13
	v_add_co_u32_e64 v13, s[2:3], s12, v9
	v_addc_co_u32_e64 v14, s[2:3], v5, v10, s[2:3]
	v_or_b32_e32 v5, v11, v19
	v_lshlrev_b64 v[9:10], 3, v[5:6]
	v_mov_b32_e32 v5, s13
	v_add_co_u32_e64 v32, s[2:3], s12, v9
	v_addc_co_u32_e64 v33, s[2:3], v5, v10, s[2:3]
	global_load_dwordx2 v[9:10], v[13:14], off
	global_load_dwordx2 v[11:12], v[32:33], off
	s_waitcnt vmcnt(2)
	v_subrev_u32_e32 v5, s17, v34
	v_lshlrev_b32_e32 v5, 1, v5
.LBB46_12:                              ;   in Loop: Header=BB46_10 Depth=2
	s_or_b64 exec, exec, s[24:25]
	ds_write_b32 v17, v5
	s_waitcnt vmcnt(0)
	ds_write2_b64 v26, v[9:10], v[11:12] offset1:1
	s_waitcnt lgkmcnt(0)
	; wave barrier
	s_and_saveexec_b64 s[24:25], vcc
	s_cbranch_execz .LBB46_9
; %bb.13:                               ;   in Loop: Header=BB46_10 Depth=2
	s_mov_b32 s16, 0
	v_mov_b32_e32 v5, v16
.LBB46_14:                              ;   Parent Loop BB46_7 Depth=1
                                        ;     Parent Loop BB46_10 Depth=2
                                        ; =>    This Inner Loop Header: Depth=3
	v_add_u32_e32 v9, s16, v0
	ds_read_b64 v[13:14], v9
	s_add_i32 s16, s16, 8
	s_cmp_lg_u32 s16, 64
	s_waitcnt lgkmcnt(0)
	v_ashrrev_i32_e32 v9, 31, v13
	v_mul_lo_u32 v11, s6, v9
	v_mul_lo_u32 v12, s7, v13
	v_mad_u64_u32 v[9:10], s[2:3], s6, v13, 0
	v_add3_u32 v10, v10, v11, v12
	v_lshlrev_b64 v[9:10], 3, v[9:10]
	v_add_co_u32_e64 v9, s[2:3], v28, v9
	v_addc_co_u32_e64 v10, s[2:3], v29, v10, s[2:3]
	global_load_dwordx2 v[32:33], v[9:10], off
	ds_read_b128 v[9:12], v5
	s_waitcnt vmcnt(0) lgkmcnt(0)
	v_fmac_f32_e32 v27, v10, v32
	v_fmac_f32_e32 v31, v9, v32
	;; [unrolled: 1-line block ×3, first 2 shown]
	v_add_u32_e32 v9, 1, v13
	v_fma_f32 v31, -v10, v33, v31
	v_ashrrev_i32_e32 v10, 31, v9
	v_mul_lo_u32 v13, s6, v10
	v_mul_lo_u32 v32, s7, v9
	v_mad_u64_u32 v[9:10], s[2:3], s6, v9, 0
	v_add3_u32 v10, v10, v13, v32
	v_lshlrev_b64 v[9:10], 3, v[9:10]
	v_add_co_u32_e64 v9, s[2:3], v28, v9
	v_addc_co_u32_e64 v10, s[2:3], v29, v10, s[2:3]
	global_load_dwordx2 v[9:10], v[9:10], off
	s_waitcnt vmcnt(0)
	v_fmac_f32_e32 v31, v11, v9
	v_fmac_f32_e32 v27, v12, v9
	v_ashrrev_i32_e32 v9, 31, v14
	v_fma_f32 v13, -v12, v10, v31
	v_fmac_f32_e32 v27, v11, v10
	v_mul_lo_u32 v11, s6, v9
	v_mul_lo_u32 v12, s7, v14
	v_mad_u64_u32 v[9:10], s[2:3], s6, v14, 0
	v_add3_u32 v10, v10, v11, v12
	v_lshlrev_b64 v[9:10], 3, v[9:10]
	v_add_co_u32_e64 v9, s[2:3], v28, v9
	v_addc_co_u32_e64 v10, s[2:3], v29, v10, s[2:3]
	global_load_dwordx2 v[31:32], v[9:10], off
	ds_read2_b64 v[9:12], v5 offset0:3 offset1:4
	v_add_u32_e32 v5, 48, v5
	s_waitcnt vmcnt(0) lgkmcnt(0)
	v_fmac_f32_e32 v27, v10, v31
	v_fmac_f32_e32 v13, v9, v31
	;; [unrolled: 1-line block ×3, first 2 shown]
	v_add_u32_e32 v9, 1, v14
	v_fma_f32 v13, -v10, v32, v13
	v_ashrrev_i32_e32 v10, 31, v9
	v_mul_lo_u32 v14, s6, v10
	v_mul_lo_u32 v31, s7, v9
	v_mad_u64_u32 v[9:10], s[2:3], s6, v9, 0
	v_add3_u32 v10, v10, v14, v31
	v_lshlrev_b64 v[9:10], 3, v[9:10]
	v_add_co_u32_e64 v9, s[2:3], v28, v9
	v_addc_co_u32_e64 v10, s[2:3], v29, v10, s[2:3]
	global_load_dwordx2 v[9:10], v[9:10], off
	s_waitcnt vmcnt(0)
	v_fmac_f32_e32 v13, v11, v9
	v_fmac_f32_e32 v27, v12, v9
	v_fma_f32 v31, -v12, v10, v13
	v_fmac_f32_e32 v27, v11, v10
	s_cbranch_scc1 .LBB46_14
	s_branch .LBB46_9
.LBB46_15:                              ;   in Loop: Header=BB46_7 Depth=1
	s_or_b64 exec, exec, s[20:21]
.LBB46_16:                              ;   in Loop: Header=BB46_7 Depth=1
	s_or_b64 exec, exec, s[18:19]
	v_cmp_gt_i32_e32 vcc, s22, v7
	s_and_saveexec_b64 s[2:3], vcc
	s_cbranch_execz .LBB46_6
; %bb.17:                               ;   in Loop: Header=BB46_7 Depth=1
	s_and_saveexec_b64 s[18:19], s[4:5]
	s_xor_b64 s[18:19], exec, s[18:19]
	s_cbranch_execz .LBB46_22
; %bb.18:                               ;   in Loop: Header=BB46_7 Depth=1
	s_mov_b64 s[20:21], -1
	s_and_b64 vcc, exec, s[8:9]
	s_cbranch_vccz .LBB46_20
; %bb.19:                               ;   in Loop: Header=BB46_7 Depth=1
	v_lshlrev_b64 v[9:10], 3, v[7:8]
	v_mul_f32_e64 v5, v27, -v2
	v_add_co_u32_e32 v9, vcc, v22, v9
	v_addc_co_u32_e32 v10, vcc, v23, v10, vcc
	global_load_dwordx2 v[11:12], v[9:10], off
	v_mul_f32_e32 v14, v1, v27
	v_fmac_f32_e32 v5, v1, v31
	v_fmac_f32_e32 v14, v2, v31
	s_mov_b64 s[20:21], 0
	s_waitcnt vmcnt(0)
	v_fmac_f32_e32 v5, v3, v11
	v_fmac_f32_e32 v14, v4, v11
	v_fma_f32 v13, -v4, v12, v5
	v_fmac_f32_e32 v14, v3, v12
	global_store_dwordx2 v[9:10], v[13:14], off
.LBB46_20:                              ;   in Loop: Header=BB46_7 Depth=1
	s_andn2_b64 vcc, exec, s[20:21]
	s_cbranch_vccnz .LBB46_22
; %bb.21:                               ;   in Loop: Header=BB46_7 Depth=1
	v_mul_lo_u32 v5, s27, v7
	v_mul_lo_u32 v9, s26, v8
	v_mad_u64_u32 v[7:8], s[20:21], s26, v7, 0
	v_mul_f32_e32 v12, v1, v27
	v_fmac_f32_e32 v12, v2, v31
	v_add3_u32 v8, v8, v9, v5
	v_lshlrev_b64 v[7:8], 3, v[7:8]
	v_mul_f32_e64 v5, v27, -v2
	v_add_co_u32_e32 v7, vcc, v20, v7
	v_addc_co_u32_e32 v8, vcc, v21, v8, vcc
	global_load_dwordx2 v[9:10], v[7:8], off
	v_fmac_f32_e32 v5, v1, v31
                                        ; implicit-def: $vgpr27
                                        ; implicit-def: $vgpr31
	s_waitcnt vmcnt(0)
	v_fmac_f32_e32 v5, v3, v9
	v_fmac_f32_e32 v12, v4, v9
	v_fma_f32 v11, -v4, v10, v5
	v_fmac_f32_e32 v12, v3, v10
	global_store_dwordx2 v[7:8], v[11:12], off
                                        ; implicit-def: $vgpr7
.LBB46_22:                              ;   in Loop: Header=BB46_7 Depth=1
	s_andn2_saveexec_b64 s[18:19], s[18:19]
	s_cbranch_execz .LBB46_6
; %bb.23:                               ;   in Loop: Header=BB46_7 Depth=1
	v_mul_f32_e64 v9, v27, -v2
	v_mul_f32_e32 v10, v1, v27
	v_fmac_f32_e32 v9, v1, v31
	v_fmac_f32_e32 v10, v2, v31
	s_mov_b64 s[18:19], -1
	s_and_b64 vcc, exec, s[8:9]
	s_cbranch_vccz .LBB46_25
; %bb.24:                               ;   in Loop: Header=BB46_7 Depth=1
	v_lshlrev_b64 v[11:12], 3, v[7:8]
	s_mov_b64 s[18:19], 0
	v_add_co_u32_e32 v11, vcc, v22, v11
	v_addc_co_u32_e32 v12, vcc, v23, v12, vcc
	global_store_dwordx2 v[11:12], v[9:10], off
.LBB46_25:                              ;   in Loop: Header=BB46_7 Depth=1
	s_andn2_b64 vcc, exec, s[18:19]
	s_cbranch_vccnz .LBB46_6
; %bb.26:                               ;   in Loop: Header=BB46_7 Depth=1
	v_mul_lo_u32 v5, s27, v7
	v_mul_lo_u32 v11, s26, v8
	v_mad_u64_u32 v[7:8], s[18:19], s26, v7, 0
	v_add3_u32 v8, v8, v11, v5
	v_lshlrev_b64 v[7:8], 3, v[7:8]
	v_add_co_u32_e32 v7, vcc, v20, v7
	v_addc_co_u32_e32 v8, vcc, v21, v8, vcc
	global_store_dwordx2 v[7:8], v[9:10], off
	s_branch .LBB46_6
.LBB46_27:
	s_endpgm
	.section	.rodata,"a",@progbits
	.p2align	6, 0x0
	.amdhsa_kernel _ZN9rocsparseL29bsrmmnt_small_blockdim_kernelILj64ELj16ELj2Eii21rocsparse_complex_numIfES2_S2_S2_EEv20rocsparse_direction_T3_S4_llNS_24const_host_device_scalarIT7_EEPKT2_PKS4_PKT4_PKT5_llS7_PT6_ll16rocsparse_order_21rocsparse_index_base_b
		.amdhsa_group_segment_fixed_size 1792
		.amdhsa_private_segment_fixed_size 0
		.amdhsa_kernarg_size 392
		.amdhsa_user_sgpr_count 6
		.amdhsa_user_sgpr_private_segment_buffer 1
		.amdhsa_user_sgpr_dispatch_ptr 0
		.amdhsa_user_sgpr_queue_ptr 0
		.amdhsa_user_sgpr_kernarg_segment_ptr 1
		.amdhsa_user_sgpr_dispatch_id 0
		.amdhsa_user_sgpr_flat_scratch_init 0
		.amdhsa_user_sgpr_private_segment_size 0
		.amdhsa_uses_dynamic_stack 0
		.amdhsa_system_sgpr_private_segment_wavefront_offset 0
		.amdhsa_system_sgpr_workgroup_id_x 1
		.amdhsa_system_sgpr_workgroup_id_y 0
		.amdhsa_system_sgpr_workgroup_id_z 0
		.amdhsa_system_sgpr_workgroup_info 0
		.amdhsa_system_vgpr_workitem_id 0
		.amdhsa_next_free_vgpr 35
		.amdhsa_next_free_sgpr 61
		.amdhsa_reserve_vcc 1
		.amdhsa_reserve_flat_scratch 0
		.amdhsa_float_round_mode_32 0
		.amdhsa_float_round_mode_16_64 0
		.amdhsa_float_denorm_mode_32 3
		.amdhsa_float_denorm_mode_16_64 3
		.amdhsa_dx10_clamp 1
		.amdhsa_ieee_mode 1
		.amdhsa_fp16_overflow 0
		.amdhsa_exception_fp_ieee_invalid_op 0
		.amdhsa_exception_fp_denorm_src 0
		.amdhsa_exception_fp_ieee_div_zero 0
		.amdhsa_exception_fp_ieee_overflow 0
		.amdhsa_exception_fp_ieee_underflow 0
		.amdhsa_exception_fp_ieee_inexact 0
		.amdhsa_exception_int_div_zero 0
	.end_amdhsa_kernel
	.section	.text._ZN9rocsparseL29bsrmmnt_small_blockdim_kernelILj64ELj16ELj2Eii21rocsparse_complex_numIfES2_S2_S2_EEv20rocsparse_direction_T3_S4_llNS_24const_host_device_scalarIT7_EEPKT2_PKS4_PKT4_PKT5_llS7_PT6_ll16rocsparse_order_21rocsparse_index_base_b,"axG",@progbits,_ZN9rocsparseL29bsrmmnt_small_blockdim_kernelILj64ELj16ELj2Eii21rocsparse_complex_numIfES2_S2_S2_EEv20rocsparse_direction_T3_S4_llNS_24const_host_device_scalarIT7_EEPKT2_PKS4_PKT4_PKT5_llS7_PT6_ll16rocsparse_order_21rocsparse_index_base_b,comdat
.Lfunc_end46:
	.size	_ZN9rocsparseL29bsrmmnt_small_blockdim_kernelILj64ELj16ELj2Eii21rocsparse_complex_numIfES2_S2_S2_EEv20rocsparse_direction_T3_S4_llNS_24const_host_device_scalarIT7_EEPKT2_PKS4_PKT4_PKT5_llS7_PT6_ll16rocsparse_order_21rocsparse_index_base_b, .Lfunc_end46-_ZN9rocsparseL29bsrmmnt_small_blockdim_kernelILj64ELj16ELj2Eii21rocsparse_complex_numIfES2_S2_S2_EEv20rocsparse_direction_T3_S4_llNS_24const_host_device_scalarIT7_EEPKT2_PKS4_PKT4_PKT5_llS7_PT6_ll16rocsparse_order_21rocsparse_index_base_b
                                        ; -- End function
	.set _ZN9rocsparseL29bsrmmnt_small_blockdim_kernelILj64ELj16ELj2Eii21rocsparse_complex_numIfES2_S2_S2_EEv20rocsparse_direction_T3_S4_llNS_24const_host_device_scalarIT7_EEPKT2_PKS4_PKT4_PKT5_llS7_PT6_ll16rocsparse_order_21rocsparse_index_base_b.num_vgpr, 35
	.set _ZN9rocsparseL29bsrmmnt_small_blockdim_kernelILj64ELj16ELj2Eii21rocsparse_complex_numIfES2_S2_S2_EEv20rocsparse_direction_T3_S4_llNS_24const_host_device_scalarIT7_EEPKT2_PKS4_PKT4_PKT5_llS7_PT6_ll16rocsparse_order_21rocsparse_index_base_b.num_agpr, 0
	.set _ZN9rocsparseL29bsrmmnt_small_blockdim_kernelILj64ELj16ELj2Eii21rocsparse_complex_numIfES2_S2_S2_EEv20rocsparse_direction_T3_S4_llNS_24const_host_device_scalarIT7_EEPKT2_PKS4_PKT4_PKT5_llS7_PT6_ll16rocsparse_order_21rocsparse_index_base_b.numbered_sgpr, 28
	.set _ZN9rocsparseL29bsrmmnt_small_blockdim_kernelILj64ELj16ELj2Eii21rocsparse_complex_numIfES2_S2_S2_EEv20rocsparse_direction_T3_S4_llNS_24const_host_device_scalarIT7_EEPKT2_PKS4_PKT4_PKT5_llS7_PT6_ll16rocsparse_order_21rocsparse_index_base_b.num_named_barrier, 0
	.set _ZN9rocsparseL29bsrmmnt_small_blockdim_kernelILj64ELj16ELj2Eii21rocsparse_complex_numIfES2_S2_S2_EEv20rocsparse_direction_T3_S4_llNS_24const_host_device_scalarIT7_EEPKT2_PKS4_PKT4_PKT5_llS7_PT6_ll16rocsparse_order_21rocsparse_index_base_b.private_seg_size, 0
	.set _ZN9rocsparseL29bsrmmnt_small_blockdim_kernelILj64ELj16ELj2Eii21rocsparse_complex_numIfES2_S2_S2_EEv20rocsparse_direction_T3_S4_llNS_24const_host_device_scalarIT7_EEPKT2_PKS4_PKT4_PKT5_llS7_PT6_ll16rocsparse_order_21rocsparse_index_base_b.uses_vcc, 1
	.set _ZN9rocsparseL29bsrmmnt_small_blockdim_kernelILj64ELj16ELj2Eii21rocsparse_complex_numIfES2_S2_S2_EEv20rocsparse_direction_T3_S4_llNS_24const_host_device_scalarIT7_EEPKT2_PKS4_PKT4_PKT5_llS7_PT6_ll16rocsparse_order_21rocsparse_index_base_b.uses_flat_scratch, 0
	.set _ZN9rocsparseL29bsrmmnt_small_blockdim_kernelILj64ELj16ELj2Eii21rocsparse_complex_numIfES2_S2_S2_EEv20rocsparse_direction_T3_S4_llNS_24const_host_device_scalarIT7_EEPKT2_PKS4_PKT4_PKT5_llS7_PT6_ll16rocsparse_order_21rocsparse_index_base_b.has_dyn_sized_stack, 0
	.set _ZN9rocsparseL29bsrmmnt_small_blockdim_kernelILj64ELj16ELj2Eii21rocsparse_complex_numIfES2_S2_S2_EEv20rocsparse_direction_T3_S4_llNS_24const_host_device_scalarIT7_EEPKT2_PKS4_PKT4_PKT5_llS7_PT6_ll16rocsparse_order_21rocsparse_index_base_b.has_recursion, 0
	.set _ZN9rocsparseL29bsrmmnt_small_blockdim_kernelILj64ELj16ELj2Eii21rocsparse_complex_numIfES2_S2_S2_EEv20rocsparse_direction_T3_S4_llNS_24const_host_device_scalarIT7_EEPKT2_PKS4_PKT4_PKT5_llS7_PT6_ll16rocsparse_order_21rocsparse_index_base_b.has_indirect_call, 0
	.section	.AMDGPU.csdata,"",@progbits
; Kernel info:
; codeLenInByte = 1620
; TotalNumSgprs: 32
; NumVgprs: 35
; ScratchSize: 0
; MemoryBound: 0
; FloatMode: 240
; IeeeMode: 1
; LDSByteSize: 1792 bytes/workgroup (compile time only)
; SGPRBlocks: 8
; VGPRBlocks: 8
; NumSGPRsForWavesPerEU: 65
; NumVGPRsForWavesPerEU: 35
; Occupancy: 7
; WaveLimiterHint : 0
; COMPUTE_PGM_RSRC2:SCRATCH_EN: 0
; COMPUTE_PGM_RSRC2:USER_SGPR: 6
; COMPUTE_PGM_RSRC2:TRAP_HANDLER: 0
; COMPUTE_PGM_RSRC2:TGID_X_EN: 1
; COMPUTE_PGM_RSRC2:TGID_Y_EN: 0
; COMPUTE_PGM_RSRC2:TGID_Z_EN: 0
; COMPUTE_PGM_RSRC2:TIDIG_COMP_CNT: 0
	.section	.text._ZN9rocsparseL29bsrmmnt_small_blockdim_kernelILj64ELj32ELj2Eii21rocsparse_complex_numIfES2_S2_S2_EEv20rocsparse_direction_T3_S4_llNS_24const_host_device_scalarIT7_EEPKT2_PKS4_PKT4_PKT5_llS7_PT6_ll16rocsparse_order_21rocsparse_index_base_b,"axG",@progbits,_ZN9rocsparseL29bsrmmnt_small_blockdim_kernelILj64ELj32ELj2Eii21rocsparse_complex_numIfES2_S2_S2_EEv20rocsparse_direction_T3_S4_llNS_24const_host_device_scalarIT7_EEPKT2_PKS4_PKT4_PKT5_llS7_PT6_ll16rocsparse_order_21rocsparse_index_base_b,comdat
	.globl	_ZN9rocsparseL29bsrmmnt_small_blockdim_kernelILj64ELj32ELj2Eii21rocsparse_complex_numIfES2_S2_S2_EEv20rocsparse_direction_T3_S4_llNS_24const_host_device_scalarIT7_EEPKT2_PKS4_PKT4_PKT5_llS7_PT6_ll16rocsparse_order_21rocsparse_index_base_b ; -- Begin function _ZN9rocsparseL29bsrmmnt_small_blockdim_kernelILj64ELj32ELj2Eii21rocsparse_complex_numIfES2_S2_S2_EEv20rocsparse_direction_T3_S4_llNS_24const_host_device_scalarIT7_EEPKT2_PKS4_PKT4_PKT5_llS7_PT6_ll16rocsparse_order_21rocsparse_index_base_b
	.p2align	8
	.type	_ZN9rocsparseL29bsrmmnt_small_blockdim_kernelILj64ELj32ELj2Eii21rocsparse_complex_numIfES2_S2_S2_EEv20rocsparse_direction_T3_S4_llNS_24const_host_device_scalarIT7_EEPKT2_PKS4_PKT4_PKT5_llS7_PT6_ll16rocsparse_order_21rocsparse_index_base_b,@function
_ZN9rocsparseL29bsrmmnt_small_blockdim_kernelILj64ELj32ELj2Eii21rocsparse_complex_numIfES2_S2_S2_EEv20rocsparse_direction_T3_S4_llNS_24const_host_device_scalarIT7_EEPKT2_PKS4_PKT4_PKT5_llS7_PT6_ll16rocsparse_order_21rocsparse_index_base_b: ; @_ZN9rocsparseL29bsrmmnt_small_blockdim_kernelILj64ELj32ELj2Eii21rocsparse_complex_numIfES2_S2_S2_EEv20rocsparse_direction_T3_S4_llNS_24const_host_device_scalarIT7_EEPKT2_PKS4_PKT4_PKT5_llS7_PT6_ll16rocsparse_order_21rocsparse_index_base_b
; %bb.0:
	s_load_dwordx2 s[0:1], s[4:5], 0x20
	s_load_dwordx2 s[2:3], s[4:5], 0x58
	s_load_dwordx4 s[16:19], s[4:5], 0x78
	s_add_u32 s7, s4, 32
	s_addc_u32 s8, s5, 0
	s_add_u32 s9, s4, 0x58
	s_addc_u32 s10, s5, 0
	s_waitcnt lgkmcnt(0)
	s_bitcmp1_b32 s18, 0
	s_cselect_b32 s1, s8, s1
	s_cselect_b32 s0, s7, s0
	v_mov_b32_e32 v1, s0
	v_mov_b32_e32 v2, s1
	flat_load_dwordx2 v[1:2], v[1:2]
	s_cselect_b32 s0, s10, s3
	s_cselect_b32 s1, s9, s2
	v_mov_b32_e32 v3, s1
	v_mov_b32_e32 v4, s0
	flat_load_dwordx2 v[3:4], v[3:4]
	s_waitcnt vmcnt(0) lgkmcnt(0)
	v_cmp_eq_f32_e32 vcc, 0, v1
	v_cmp_eq_f32_e64 s[0:1], 0, v2
	s_and_b64 s[8:9], vcc, s[0:1]
	s_mov_b64 s[0:1], -1
	s_and_saveexec_b64 s[2:3], s[8:9]
; %bb.1:
	v_cmp_neq_f32_e32 vcc, 1.0, v3
	v_cmp_neq_f32_e64 s[0:1], 0, v4
	s_or_b64 s[0:1], vcc, s[0:1]
	s_orn2_b64 s[0:1], s[0:1], exec
; %bb.2:
	s_or_b64 exec, exec, s[2:3]
	s_and_saveexec_b64 s[2:3], s[0:1]
	s_cbranch_execz .LBB47_27
; %bb.3:
	s_load_dword s0, s[4:5], 0x94
	s_load_dwordx4 s[20:23], s[4:5], 0x0
	s_waitcnt lgkmcnt(0)
	s_and_b32 s0, s0, 0xffff
	s_mul_i32 s6, s6, s0
	v_add_u32_e32 v5, s6, v0
	v_lshrrev_b32_e32 v6, 6, v5
	v_cmp_gt_i32_e32 vcc, s21, v6
	s_and_b64 exec, exec, vcc
	s_cbranch_execz .LBB47_27
; %bb.4:
	s_cmp_lt_i32 s22, 1
	s_cbranch_scc1 .LBB47_27
; %bb.5:
	s_load_dwordx8 s[8:15], s[4:5], 0x28
	v_lshlrev_b32_e32 v6, 2, v6
	v_lshrrev_b32_e32 v11, 5, v5
	v_bfe_u32 v5, v5, 5, 1
	s_cmp_eq_u32 s20, 0
	s_waitcnt lgkmcnt(0)
	global_load_dwordx2 v[7:8], v6, s[8:9]
	s_load_dwordx4 s[24:27], s[4:5], 0x60
	s_load_dwordx2 s[6:7], s[4:5], 0x48
	v_and_b32_e32 v15, 31, v0
	v_lshrrev_b32_e32 v9, 5, v0
	v_mov_b32_e32 v0, 0x600
	v_cmp_neq_f32_e32 vcc, 0, v3
	v_cmp_neq_f32_e64 s[0:1], 0, v4
	v_lshlrev_b32_e32 v10, 1, v5
	s_cselect_b64 s[2:3], -1, 0
	v_lshl_or_b32 v0, v9, 7, v0
	v_mul_u32_u24_e32 v16, 0x300, v9
	s_or_b64 s[4:5], vcc, s[0:1]
	v_or_b32_e32 v19, 1, v10
	v_cndmask_b32_e64 v18, v5, v10, s[2:3]
	s_waitcnt lgkmcnt(0)
	v_mad_u64_u32 v[9:10], s[0:1], s26, v11, 0
	v_mov_b32_e32 v6, 0
	v_or_b32_e32 v12, 2, v5
	v_mov_b32_e32 v5, v10
	v_lshlrev_b32_e32 v14, 3, v11
	v_mad_u64_u32 v[10:11], s[0:1], s27, v11, v[5:6]
	v_mov_b32_e32 v21, s25
	v_add_co_u32_e32 v20, vcc, s24, v14
	v_lshlrev_b64 v[9:10], 3, v[9:10]
	v_addc_co_u32_e32 v21, vcc, 0, v21, vcc
	v_mul_u32_u24_e32 v13, 24, v15
	s_cmp_lg_u32 s16, 1
	v_cndmask_b32_e64 v19, v12, v19, s[2:3]
	v_mov_b32_e32 v12, s25
	v_add_co_u32_e32 v22, vcc, s24, v9
	s_mov_b32 s23, 0
	v_lshl_or_b32 v17, v15, 2, v0
	s_cselect_b64 s[8:9], -1, 0
	v_addc_co_u32_e32 v23, vcc, v12, v10, vcc
	v_add_u32_e32 v26, v16, v13
	s_waitcnt vmcnt(0)
	v_subrev_u32_e32 v24, s17, v7
	v_subrev_u32_e32 v25, s17, v8
	v_cmp_lt_i32_e64 s[0:1], v7, v8
	s_branch .LBB47_7
.LBB47_6:                               ;   in Loop: Header=BB47_7 Depth=1
	s_or_b64 exec, exec, s[2:3]
	s_add_i32 s23, s23, 32
	s_cmp_lt_i32 s23, s22
	s_cbranch_scc0 .LBB47_27
.LBB47_7:                               ; =>This Loop Header: Depth=1
                                        ;     Child Loop BB47_10 Depth 2
                                        ;       Child Loop BB47_14 Depth 3
	v_or_b32_e32 v7, s23, v15
	v_ashrrev_i32_e32 v8, 31, v7
	v_mov_b32_e32 v27, v6
	v_mov_b32_e32 v31, v6
	s_and_saveexec_b64 s[18:19], s[0:1]
	s_cbranch_execz .LBB47_16
; %bb.8:                                ;   in Loop: Header=BB47_7 Depth=1
	v_lshlrev_b64 v[9:10], 3, v[7:8]
	v_mov_b32_e32 v5, s15
	v_add_co_u32_e64 v28, s[2:3], s14, v9
	v_cmp_gt_i32_e32 vcc, s22, v7
	v_addc_co_u32_e64 v29, s[2:3], v5, v10, s[2:3]
	v_mov_b32_e32 v27, 0
	s_mov_b64 s[20:21], 0
	v_mov_b32_e32 v30, v24
	v_mov_b32_e32 v31, 0
	s_branch .LBB47_10
.LBB47_9:                               ;   in Loop: Header=BB47_10 Depth=2
	s_or_b64 exec, exec, s[24:25]
	v_add_u32_e32 v30, 32, v30
	v_cmp_ge_i32_e64 s[2:3], v30, v25
	s_or_b64 s[20:21], s[2:3], s[20:21]
	s_andn2_b64 exec, exec, s[20:21]
	s_cbranch_execz .LBB47_15
.LBB47_10:                              ;   Parent Loop BB47_7 Depth=1
                                        ; =>  This Loop Header: Depth=2
                                        ;       Child Loop BB47_14 Depth 3
	v_add_u32_e32 v13, v30, v15
	v_cmp_lt_i32_e64 s[2:3], v13, v25
	v_mov_b32_e32 v5, 0
	v_mov_b32_e32 v9, 0
	;; [unrolled: 1-line block ×5, first 2 shown]
	s_and_saveexec_b64 s[24:25], s[2:3]
	s_cbranch_execz .LBB47_12
; %bb.11:                               ;   in Loop: Header=BB47_10 Depth=2
	v_ashrrev_i32_e32 v14, 31, v13
	v_lshlrev_b64 v[9:10], 2, v[13:14]
	v_mov_b32_e32 v5, s11
	v_add_co_u32_e64 v9, s[2:3], s10, v9
	v_lshlrev_b32_e32 v11, 2, v13
	v_addc_co_u32_e64 v10, s[2:3], v5, v10, s[2:3]
	v_or_b32_e32 v5, v11, v18
	global_load_dword v34, v[9:10], off
	v_lshlrev_b64 v[9:10], 3, v[5:6]
	v_mov_b32_e32 v5, s13
	v_add_co_u32_e64 v13, s[2:3], s12, v9
	v_addc_co_u32_e64 v14, s[2:3], v5, v10, s[2:3]
	v_or_b32_e32 v5, v11, v19
	v_lshlrev_b64 v[9:10], 3, v[5:6]
	v_mov_b32_e32 v5, s13
	v_add_co_u32_e64 v32, s[2:3], s12, v9
	v_addc_co_u32_e64 v33, s[2:3], v5, v10, s[2:3]
	global_load_dwordx2 v[9:10], v[13:14], off
	global_load_dwordx2 v[11:12], v[32:33], off
	s_waitcnt vmcnt(2)
	v_subrev_u32_e32 v5, s17, v34
	v_lshlrev_b32_e32 v5, 1, v5
.LBB47_12:                              ;   in Loop: Header=BB47_10 Depth=2
	s_or_b64 exec, exec, s[24:25]
	ds_write_b32 v17, v5
	s_waitcnt vmcnt(0)
	ds_write2_b64 v26, v[9:10], v[11:12] offset1:1
	s_waitcnt lgkmcnt(0)
	; wave barrier
	s_and_saveexec_b64 s[24:25], vcc
	s_cbranch_execz .LBB47_9
; %bb.13:                               ;   in Loop: Header=BB47_10 Depth=2
	s_mov_b32 s16, 0
	v_mov_b32_e32 v5, v16
.LBB47_14:                              ;   Parent Loop BB47_7 Depth=1
                                        ;     Parent Loop BB47_10 Depth=2
                                        ; =>    This Inner Loop Header: Depth=3
	v_add_u32_e32 v9, s16, v0
	ds_read_b64 v[13:14], v9
	s_add_i32 s16, s16, 8
	s_cmpk_lg_i32 s16, 0x80
	s_waitcnt lgkmcnt(0)
	v_ashrrev_i32_e32 v9, 31, v13
	v_mul_lo_u32 v11, s6, v9
	v_mul_lo_u32 v12, s7, v13
	v_mad_u64_u32 v[9:10], s[2:3], s6, v13, 0
	v_add3_u32 v10, v10, v11, v12
	v_lshlrev_b64 v[9:10], 3, v[9:10]
	v_add_co_u32_e64 v9, s[2:3], v28, v9
	v_addc_co_u32_e64 v10, s[2:3], v29, v10, s[2:3]
	global_load_dwordx2 v[32:33], v[9:10], off
	ds_read_b128 v[9:12], v5
	s_waitcnt vmcnt(0) lgkmcnt(0)
	v_fmac_f32_e32 v27, v10, v32
	v_fmac_f32_e32 v31, v9, v32
	;; [unrolled: 1-line block ×3, first 2 shown]
	v_add_u32_e32 v9, 1, v13
	v_fma_f32 v31, -v10, v33, v31
	v_ashrrev_i32_e32 v10, 31, v9
	v_mul_lo_u32 v13, s6, v10
	v_mul_lo_u32 v32, s7, v9
	v_mad_u64_u32 v[9:10], s[2:3], s6, v9, 0
	v_add3_u32 v10, v10, v13, v32
	v_lshlrev_b64 v[9:10], 3, v[9:10]
	v_add_co_u32_e64 v9, s[2:3], v28, v9
	v_addc_co_u32_e64 v10, s[2:3], v29, v10, s[2:3]
	global_load_dwordx2 v[9:10], v[9:10], off
	s_waitcnt vmcnt(0)
	v_fmac_f32_e32 v31, v11, v9
	v_fmac_f32_e32 v27, v12, v9
	v_ashrrev_i32_e32 v9, 31, v14
	v_fma_f32 v13, -v12, v10, v31
	v_fmac_f32_e32 v27, v11, v10
	v_mul_lo_u32 v11, s6, v9
	v_mul_lo_u32 v12, s7, v14
	v_mad_u64_u32 v[9:10], s[2:3], s6, v14, 0
	v_add3_u32 v10, v10, v11, v12
	v_lshlrev_b64 v[9:10], 3, v[9:10]
	v_add_co_u32_e64 v9, s[2:3], v28, v9
	v_addc_co_u32_e64 v10, s[2:3], v29, v10, s[2:3]
	global_load_dwordx2 v[31:32], v[9:10], off
	ds_read2_b64 v[9:12], v5 offset0:3 offset1:4
	v_add_u32_e32 v5, 48, v5
	s_waitcnt vmcnt(0) lgkmcnt(0)
	v_fmac_f32_e32 v27, v10, v31
	v_fmac_f32_e32 v13, v9, v31
	;; [unrolled: 1-line block ×3, first 2 shown]
	v_add_u32_e32 v9, 1, v14
	v_fma_f32 v13, -v10, v32, v13
	v_ashrrev_i32_e32 v10, 31, v9
	v_mul_lo_u32 v14, s6, v10
	v_mul_lo_u32 v31, s7, v9
	v_mad_u64_u32 v[9:10], s[2:3], s6, v9, 0
	v_add3_u32 v10, v10, v14, v31
	v_lshlrev_b64 v[9:10], 3, v[9:10]
	v_add_co_u32_e64 v9, s[2:3], v28, v9
	v_addc_co_u32_e64 v10, s[2:3], v29, v10, s[2:3]
	global_load_dwordx2 v[9:10], v[9:10], off
	s_waitcnt vmcnt(0)
	v_fmac_f32_e32 v13, v11, v9
	v_fmac_f32_e32 v27, v12, v9
	v_fma_f32 v31, -v12, v10, v13
	v_fmac_f32_e32 v27, v11, v10
	s_cbranch_scc1 .LBB47_14
	s_branch .LBB47_9
.LBB47_15:                              ;   in Loop: Header=BB47_7 Depth=1
	s_or_b64 exec, exec, s[20:21]
.LBB47_16:                              ;   in Loop: Header=BB47_7 Depth=1
	s_or_b64 exec, exec, s[18:19]
	v_cmp_gt_i32_e32 vcc, s22, v7
	s_and_saveexec_b64 s[2:3], vcc
	s_cbranch_execz .LBB47_6
; %bb.17:                               ;   in Loop: Header=BB47_7 Depth=1
	s_and_saveexec_b64 s[18:19], s[4:5]
	s_xor_b64 s[18:19], exec, s[18:19]
	s_cbranch_execz .LBB47_22
; %bb.18:                               ;   in Loop: Header=BB47_7 Depth=1
	s_mov_b64 s[20:21], -1
	s_and_b64 vcc, exec, s[8:9]
	s_cbranch_vccz .LBB47_20
; %bb.19:                               ;   in Loop: Header=BB47_7 Depth=1
	v_lshlrev_b64 v[9:10], 3, v[7:8]
	v_mul_f32_e64 v5, v27, -v2
	v_add_co_u32_e32 v9, vcc, v22, v9
	v_addc_co_u32_e32 v10, vcc, v23, v10, vcc
	global_load_dwordx2 v[11:12], v[9:10], off
	v_mul_f32_e32 v14, v1, v27
	v_fmac_f32_e32 v5, v1, v31
	v_fmac_f32_e32 v14, v2, v31
	s_mov_b64 s[20:21], 0
	s_waitcnt vmcnt(0)
	v_fmac_f32_e32 v5, v3, v11
	v_fmac_f32_e32 v14, v4, v11
	v_fma_f32 v13, -v4, v12, v5
	v_fmac_f32_e32 v14, v3, v12
	global_store_dwordx2 v[9:10], v[13:14], off
.LBB47_20:                              ;   in Loop: Header=BB47_7 Depth=1
	s_andn2_b64 vcc, exec, s[20:21]
	s_cbranch_vccnz .LBB47_22
; %bb.21:                               ;   in Loop: Header=BB47_7 Depth=1
	v_mul_lo_u32 v5, s27, v7
	v_mul_lo_u32 v9, s26, v8
	v_mad_u64_u32 v[7:8], s[20:21], s26, v7, 0
	v_mul_f32_e32 v12, v1, v27
	v_fmac_f32_e32 v12, v2, v31
	v_add3_u32 v8, v8, v9, v5
	v_lshlrev_b64 v[7:8], 3, v[7:8]
	v_mul_f32_e64 v5, v27, -v2
	v_add_co_u32_e32 v7, vcc, v20, v7
	v_addc_co_u32_e32 v8, vcc, v21, v8, vcc
	global_load_dwordx2 v[9:10], v[7:8], off
	v_fmac_f32_e32 v5, v1, v31
                                        ; implicit-def: $vgpr27
                                        ; implicit-def: $vgpr31
	s_waitcnt vmcnt(0)
	v_fmac_f32_e32 v5, v3, v9
	v_fmac_f32_e32 v12, v4, v9
	v_fma_f32 v11, -v4, v10, v5
	v_fmac_f32_e32 v12, v3, v10
	global_store_dwordx2 v[7:8], v[11:12], off
                                        ; implicit-def: $vgpr7
.LBB47_22:                              ;   in Loop: Header=BB47_7 Depth=1
	s_andn2_saveexec_b64 s[18:19], s[18:19]
	s_cbranch_execz .LBB47_6
; %bb.23:                               ;   in Loop: Header=BB47_7 Depth=1
	v_mul_f32_e64 v9, v27, -v2
	v_mul_f32_e32 v10, v1, v27
	v_fmac_f32_e32 v9, v1, v31
	v_fmac_f32_e32 v10, v2, v31
	s_mov_b64 s[18:19], -1
	s_and_b64 vcc, exec, s[8:9]
	s_cbranch_vccz .LBB47_25
; %bb.24:                               ;   in Loop: Header=BB47_7 Depth=1
	v_lshlrev_b64 v[11:12], 3, v[7:8]
	s_mov_b64 s[18:19], 0
	v_add_co_u32_e32 v11, vcc, v22, v11
	v_addc_co_u32_e32 v12, vcc, v23, v12, vcc
	global_store_dwordx2 v[11:12], v[9:10], off
.LBB47_25:                              ;   in Loop: Header=BB47_7 Depth=1
	s_andn2_b64 vcc, exec, s[18:19]
	s_cbranch_vccnz .LBB47_6
; %bb.26:                               ;   in Loop: Header=BB47_7 Depth=1
	v_mul_lo_u32 v5, s27, v7
	v_mul_lo_u32 v11, s26, v8
	v_mad_u64_u32 v[7:8], s[18:19], s26, v7, 0
	v_add3_u32 v8, v8, v11, v5
	v_lshlrev_b64 v[7:8], 3, v[7:8]
	v_add_co_u32_e32 v7, vcc, v20, v7
	v_addc_co_u32_e32 v8, vcc, v21, v8, vcc
	global_store_dwordx2 v[7:8], v[9:10], off
	s_branch .LBB47_6
.LBB47_27:
	s_endpgm
	.section	.rodata,"a",@progbits
	.p2align	6, 0x0
	.amdhsa_kernel _ZN9rocsparseL29bsrmmnt_small_blockdim_kernelILj64ELj32ELj2Eii21rocsparse_complex_numIfES2_S2_S2_EEv20rocsparse_direction_T3_S4_llNS_24const_host_device_scalarIT7_EEPKT2_PKS4_PKT4_PKT5_llS7_PT6_ll16rocsparse_order_21rocsparse_index_base_b
		.amdhsa_group_segment_fixed_size 1792
		.amdhsa_private_segment_fixed_size 0
		.amdhsa_kernarg_size 392
		.amdhsa_user_sgpr_count 6
		.amdhsa_user_sgpr_private_segment_buffer 1
		.amdhsa_user_sgpr_dispatch_ptr 0
		.amdhsa_user_sgpr_queue_ptr 0
		.amdhsa_user_sgpr_kernarg_segment_ptr 1
		.amdhsa_user_sgpr_dispatch_id 0
		.amdhsa_user_sgpr_flat_scratch_init 0
		.amdhsa_user_sgpr_private_segment_size 0
		.amdhsa_uses_dynamic_stack 0
		.amdhsa_system_sgpr_private_segment_wavefront_offset 0
		.amdhsa_system_sgpr_workgroup_id_x 1
		.amdhsa_system_sgpr_workgroup_id_y 0
		.amdhsa_system_sgpr_workgroup_id_z 0
		.amdhsa_system_sgpr_workgroup_info 0
		.amdhsa_system_vgpr_workitem_id 0
		.amdhsa_next_free_vgpr 35
		.amdhsa_next_free_sgpr 61
		.amdhsa_reserve_vcc 1
		.amdhsa_reserve_flat_scratch 0
		.amdhsa_float_round_mode_32 0
		.amdhsa_float_round_mode_16_64 0
		.amdhsa_float_denorm_mode_32 3
		.amdhsa_float_denorm_mode_16_64 3
		.amdhsa_dx10_clamp 1
		.amdhsa_ieee_mode 1
		.amdhsa_fp16_overflow 0
		.amdhsa_exception_fp_ieee_invalid_op 0
		.amdhsa_exception_fp_denorm_src 0
		.amdhsa_exception_fp_ieee_div_zero 0
		.amdhsa_exception_fp_ieee_overflow 0
		.amdhsa_exception_fp_ieee_underflow 0
		.amdhsa_exception_fp_ieee_inexact 0
		.amdhsa_exception_int_div_zero 0
	.end_amdhsa_kernel
	.section	.text._ZN9rocsparseL29bsrmmnt_small_blockdim_kernelILj64ELj32ELj2Eii21rocsparse_complex_numIfES2_S2_S2_EEv20rocsparse_direction_T3_S4_llNS_24const_host_device_scalarIT7_EEPKT2_PKS4_PKT4_PKT5_llS7_PT6_ll16rocsparse_order_21rocsparse_index_base_b,"axG",@progbits,_ZN9rocsparseL29bsrmmnt_small_blockdim_kernelILj64ELj32ELj2Eii21rocsparse_complex_numIfES2_S2_S2_EEv20rocsparse_direction_T3_S4_llNS_24const_host_device_scalarIT7_EEPKT2_PKS4_PKT4_PKT5_llS7_PT6_ll16rocsparse_order_21rocsparse_index_base_b,comdat
.Lfunc_end47:
	.size	_ZN9rocsparseL29bsrmmnt_small_blockdim_kernelILj64ELj32ELj2Eii21rocsparse_complex_numIfES2_S2_S2_EEv20rocsparse_direction_T3_S4_llNS_24const_host_device_scalarIT7_EEPKT2_PKS4_PKT4_PKT5_llS7_PT6_ll16rocsparse_order_21rocsparse_index_base_b, .Lfunc_end47-_ZN9rocsparseL29bsrmmnt_small_blockdim_kernelILj64ELj32ELj2Eii21rocsparse_complex_numIfES2_S2_S2_EEv20rocsparse_direction_T3_S4_llNS_24const_host_device_scalarIT7_EEPKT2_PKS4_PKT4_PKT5_llS7_PT6_ll16rocsparse_order_21rocsparse_index_base_b
                                        ; -- End function
	.set _ZN9rocsparseL29bsrmmnt_small_blockdim_kernelILj64ELj32ELj2Eii21rocsparse_complex_numIfES2_S2_S2_EEv20rocsparse_direction_T3_S4_llNS_24const_host_device_scalarIT7_EEPKT2_PKS4_PKT4_PKT5_llS7_PT6_ll16rocsparse_order_21rocsparse_index_base_b.num_vgpr, 35
	.set _ZN9rocsparseL29bsrmmnt_small_blockdim_kernelILj64ELj32ELj2Eii21rocsparse_complex_numIfES2_S2_S2_EEv20rocsparse_direction_T3_S4_llNS_24const_host_device_scalarIT7_EEPKT2_PKS4_PKT4_PKT5_llS7_PT6_ll16rocsparse_order_21rocsparse_index_base_b.num_agpr, 0
	.set _ZN9rocsparseL29bsrmmnt_small_blockdim_kernelILj64ELj32ELj2Eii21rocsparse_complex_numIfES2_S2_S2_EEv20rocsparse_direction_T3_S4_llNS_24const_host_device_scalarIT7_EEPKT2_PKS4_PKT4_PKT5_llS7_PT6_ll16rocsparse_order_21rocsparse_index_base_b.numbered_sgpr, 28
	.set _ZN9rocsparseL29bsrmmnt_small_blockdim_kernelILj64ELj32ELj2Eii21rocsparse_complex_numIfES2_S2_S2_EEv20rocsparse_direction_T3_S4_llNS_24const_host_device_scalarIT7_EEPKT2_PKS4_PKT4_PKT5_llS7_PT6_ll16rocsparse_order_21rocsparse_index_base_b.num_named_barrier, 0
	.set _ZN9rocsparseL29bsrmmnt_small_blockdim_kernelILj64ELj32ELj2Eii21rocsparse_complex_numIfES2_S2_S2_EEv20rocsparse_direction_T3_S4_llNS_24const_host_device_scalarIT7_EEPKT2_PKS4_PKT4_PKT5_llS7_PT6_ll16rocsparse_order_21rocsparse_index_base_b.private_seg_size, 0
	.set _ZN9rocsparseL29bsrmmnt_small_blockdim_kernelILj64ELj32ELj2Eii21rocsparse_complex_numIfES2_S2_S2_EEv20rocsparse_direction_T3_S4_llNS_24const_host_device_scalarIT7_EEPKT2_PKS4_PKT4_PKT5_llS7_PT6_ll16rocsparse_order_21rocsparse_index_base_b.uses_vcc, 1
	.set _ZN9rocsparseL29bsrmmnt_small_blockdim_kernelILj64ELj32ELj2Eii21rocsparse_complex_numIfES2_S2_S2_EEv20rocsparse_direction_T3_S4_llNS_24const_host_device_scalarIT7_EEPKT2_PKS4_PKT4_PKT5_llS7_PT6_ll16rocsparse_order_21rocsparse_index_base_b.uses_flat_scratch, 0
	.set _ZN9rocsparseL29bsrmmnt_small_blockdim_kernelILj64ELj32ELj2Eii21rocsparse_complex_numIfES2_S2_S2_EEv20rocsparse_direction_T3_S4_llNS_24const_host_device_scalarIT7_EEPKT2_PKS4_PKT4_PKT5_llS7_PT6_ll16rocsparse_order_21rocsparse_index_base_b.has_dyn_sized_stack, 0
	.set _ZN9rocsparseL29bsrmmnt_small_blockdim_kernelILj64ELj32ELj2Eii21rocsparse_complex_numIfES2_S2_S2_EEv20rocsparse_direction_T3_S4_llNS_24const_host_device_scalarIT7_EEPKT2_PKS4_PKT4_PKT5_llS7_PT6_ll16rocsparse_order_21rocsparse_index_base_b.has_recursion, 0
	.set _ZN9rocsparseL29bsrmmnt_small_blockdim_kernelILj64ELj32ELj2Eii21rocsparse_complex_numIfES2_S2_S2_EEv20rocsparse_direction_T3_S4_llNS_24const_host_device_scalarIT7_EEPKT2_PKS4_PKT4_PKT5_llS7_PT6_ll16rocsparse_order_21rocsparse_index_base_b.has_indirect_call, 0
	.section	.AMDGPU.csdata,"",@progbits
; Kernel info:
; codeLenInByte = 1620
; TotalNumSgprs: 32
; NumVgprs: 35
; ScratchSize: 0
; MemoryBound: 0
; FloatMode: 240
; IeeeMode: 1
; LDSByteSize: 1792 bytes/workgroup (compile time only)
; SGPRBlocks: 8
; VGPRBlocks: 8
; NumSGPRsForWavesPerEU: 65
; NumVGPRsForWavesPerEU: 35
; Occupancy: 7
; WaveLimiterHint : 0
; COMPUTE_PGM_RSRC2:SCRATCH_EN: 0
; COMPUTE_PGM_RSRC2:USER_SGPR: 6
; COMPUTE_PGM_RSRC2:TRAP_HANDLER: 0
; COMPUTE_PGM_RSRC2:TGID_X_EN: 1
; COMPUTE_PGM_RSRC2:TGID_Y_EN: 0
; COMPUTE_PGM_RSRC2:TGID_Z_EN: 0
; COMPUTE_PGM_RSRC2:TIDIG_COMP_CNT: 0
	.section	.text._ZN9rocsparseL29bsrmmnt_small_blockdim_kernelILj64ELj64ELj2Eii21rocsparse_complex_numIfES2_S2_S2_EEv20rocsparse_direction_T3_S4_llNS_24const_host_device_scalarIT7_EEPKT2_PKS4_PKT4_PKT5_llS7_PT6_ll16rocsparse_order_21rocsparse_index_base_b,"axG",@progbits,_ZN9rocsparseL29bsrmmnt_small_blockdim_kernelILj64ELj64ELj2Eii21rocsparse_complex_numIfES2_S2_S2_EEv20rocsparse_direction_T3_S4_llNS_24const_host_device_scalarIT7_EEPKT2_PKS4_PKT4_PKT5_llS7_PT6_ll16rocsparse_order_21rocsparse_index_base_b,comdat
	.globl	_ZN9rocsparseL29bsrmmnt_small_blockdim_kernelILj64ELj64ELj2Eii21rocsparse_complex_numIfES2_S2_S2_EEv20rocsparse_direction_T3_S4_llNS_24const_host_device_scalarIT7_EEPKT2_PKS4_PKT4_PKT5_llS7_PT6_ll16rocsparse_order_21rocsparse_index_base_b ; -- Begin function _ZN9rocsparseL29bsrmmnt_small_blockdim_kernelILj64ELj64ELj2Eii21rocsparse_complex_numIfES2_S2_S2_EEv20rocsparse_direction_T3_S4_llNS_24const_host_device_scalarIT7_EEPKT2_PKS4_PKT4_PKT5_llS7_PT6_ll16rocsparse_order_21rocsparse_index_base_b
	.p2align	8
	.type	_ZN9rocsparseL29bsrmmnt_small_blockdim_kernelILj64ELj64ELj2Eii21rocsparse_complex_numIfES2_S2_S2_EEv20rocsparse_direction_T3_S4_llNS_24const_host_device_scalarIT7_EEPKT2_PKS4_PKT4_PKT5_llS7_PT6_ll16rocsparse_order_21rocsparse_index_base_b,@function
_ZN9rocsparseL29bsrmmnt_small_blockdim_kernelILj64ELj64ELj2Eii21rocsparse_complex_numIfES2_S2_S2_EEv20rocsparse_direction_T3_S4_llNS_24const_host_device_scalarIT7_EEPKT2_PKS4_PKT4_PKT5_llS7_PT6_ll16rocsparse_order_21rocsparse_index_base_b: ; @_ZN9rocsparseL29bsrmmnt_small_blockdim_kernelILj64ELj64ELj2Eii21rocsparse_complex_numIfES2_S2_S2_EEv20rocsparse_direction_T3_S4_llNS_24const_host_device_scalarIT7_EEPKT2_PKS4_PKT4_PKT5_llS7_PT6_ll16rocsparse_order_21rocsparse_index_base_b
; %bb.0:
	s_load_dwordx2 s[0:1], s[4:5], 0x20
	s_load_dwordx2 s[2:3], s[4:5], 0x58
	s_load_dwordx4 s[16:19], s[4:5], 0x78
	s_add_u32 s7, s4, 32
	s_addc_u32 s8, s5, 0
	s_add_u32 s9, s4, 0x58
	s_addc_u32 s10, s5, 0
	s_waitcnt lgkmcnt(0)
	s_bitcmp1_b32 s18, 0
	s_cselect_b32 s1, s8, s1
	s_cselect_b32 s0, s7, s0
	v_mov_b32_e32 v1, s0
	v_mov_b32_e32 v2, s1
	flat_load_dwordx2 v[1:2], v[1:2]
	s_cselect_b32 s0, s10, s3
	s_cselect_b32 s1, s9, s2
	v_mov_b32_e32 v3, s1
	v_mov_b32_e32 v4, s0
	flat_load_dwordx2 v[3:4], v[3:4]
	s_waitcnt vmcnt(0) lgkmcnt(0)
	v_cmp_eq_f32_e32 vcc, 0, v1
	v_cmp_eq_f32_e64 s[0:1], 0, v2
	s_and_b64 s[8:9], vcc, s[0:1]
	s_mov_b64 s[0:1], -1
	s_and_saveexec_b64 s[2:3], s[8:9]
; %bb.1:
	v_cmp_neq_f32_e32 vcc, 1.0, v3
	v_cmp_neq_f32_e64 s[0:1], 0, v4
	s_or_b64 s[0:1], vcc, s[0:1]
	s_orn2_b64 s[0:1], s[0:1], exec
; %bb.2:
	s_or_b64 exec, exec, s[2:3]
	s_and_saveexec_b64 s[2:3], s[0:1]
	s_cbranch_execz .LBB48_27
; %bb.3:
	s_load_dword s0, s[4:5], 0x94
	s_load_dwordx4 s[20:23], s[4:5], 0x0
	s_waitcnt lgkmcnt(0)
	s_and_b32 s0, s0, 0xffff
	s_mul_i32 s6, s6, s0
	v_add_u32_e32 v5, s6, v0
	v_lshrrev_b32_e32 v6, 7, v5
	v_cmp_gt_i32_e32 vcc, s21, v6
	s_and_b64 exec, exec, vcc
	s_cbranch_execz .LBB48_27
; %bb.4:
	s_cmp_lt_i32 s22, 1
	s_cbranch_scc1 .LBB48_27
; %bb.5:
	s_load_dwordx8 s[8:15], s[4:5], 0x28
	v_lshlrev_b32_e32 v6, 2, v6
	v_lshrrev_b32_e32 v11, 6, v5
	v_bfe_u32 v5, v5, 6, 1
	s_cmp_eq_u32 s20, 0
	s_waitcnt lgkmcnt(0)
	global_load_dwordx2 v[7:8], v6, s[8:9]
	s_load_dwordx4 s[24:27], s[4:5], 0x60
	s_load_dwordx2 s[6:7], s[4:5], 0x48
	v_cmp_neq_f32_e32 vcc, 0, v3
	v_cmp_neq_f32_e64 s[0:1], 0, v4
	v_lshlrev_b32_e32 v9, 1, v5
	s_cselect_b64 s[2:3], -1, 0
	s_or_b64 s[4:5], vcc, s[0:1]
	v_or_b32_e32 v14, 1, v9
	v_cndmask_b32_e64 v16, v5, v9, s[2:3]
	s_waitcnt lgkmcnt(0)
	v_mad_u64_u32 v[9:10], s[0:1], s26, v11, 0
	v_mov_b32_e32 v6, 0
	v_or_b32_e32 v12, 2, v5
	v_mov_b32_e32 v5, v10
	v_lshlrev_b32_e32 v13, 3, v11
	v_mad_u64_u32 v[10:11], s[0:1], s27, v11, v[5:6]
	v_mov_b32_e32 v18, s25
	v_add_co_u32_e32 v17, vcc, s24, v13
	v_lshlrev_b64 v[9:10], 3, v[9:10]
	v_addc_co_u32_e32 v18, vcc, 0, v18, vcc
	s_cmp_lg_u32 s16, 1
	v_mov_b32_e32 v20, s25
	v_add_co_u32_e32 v19, vcc, s24, v9
	v_mov_b32_e32 v15, 0x600
	s_mov_b32 s23, 0
	s_cselect_b64 s[8:9], -1, 0
	v_addc_co_u32_e32 v20, vcc, v20, v10, vcc
	v_cndmask_b32_e64 v23, v12, v14, s[2:3]
	s_waitcnt vmcnt(0)
	v_subrev_u32_e32 v21, s17, v7
	v_subrev_u32_e32 v22, s17, v8
	v_cmp_lt_i32_e64 s[0:1], v7, v8
	s_branch .LBB48_7
.LBB48_6:                               ;   in Loop: Header=BB48_7 Depth=1
	s_or_b64 exec, exec, s[2:3]
	s_add_i32 s23, s23, 64
	s_cmp_lt_i32 s23, s22
	s_cbranch_scc0 .LBB48_27
.LBB48_7:                               ; =>This Loop Header: Depth=1
                                        ;     Child Loop BB48_10 Depth 2
                                        ;       Child Loop BB48_14 Depth 3
	v_or_b32_e32 v7, s23, v0
	v_ashrrev_i32_e32 v8, 31, v7
	v_mov_b32_e32 v24, v6
	v_mov_b32_e32 v28, v6
	s_and_saveexec_b64 s[18:19], s[0:1]
	s_cbranch_execz .LBB48_16
; %bb.8:                                ;   in Loop: Header=BB48_7 Depth=1
	v_lshlrev_b64 v[9:10], 3, v[7:8]
	v_mov_b32_e32 v5, s15
	v_add_co_u32_e64 v25, s[2:3], s14, v9
	v_cmp_gt_i32_e32 vcc, s22, v7
	v_addc_co_u32_e64 v26, s[2:3], v5, v10, s[2:3]
	v_mov_b32_e32 v24, 0
	s_mov_b64 s[20:21], 0
	v_mov_b32_e32 v27, v21
	v_mov_b32_e32 v28, 0
	s_branch .LBB48_10
.LBB48_9:                               ;   in Loop: Header=BB48_10 Depth=2
	s_or_b64 exec, exec, s[24:25]
	v_add_u32_e32 v27, 64, v27
	v_cmp_ge_i32_e64 s[2:3], v27, v22
	s_or_b64 s[20:21], s[2:3], s[20:21]
	s_andn2_b64 exec, exec, s[20:21]
	s_cbranch_execz .LBB48_15
.LBB48_10:                              ;   Parent Loop BB48_7 Depth=1
                                        ; =>  This Loop Header: Depth=2
                                        ;       Child Loop BB48_14 Depth 3
	v_add_u32_e32 v13, v27, v0
	v_cmp_lt_i32_e64 s[2:3], v13, v22
	v_mov_b32_e32 v5, 0
	v_mov_b32_e32 v9, 0
	v_mov_b32_e32 v10, 0
	v_mov_b32_e32 v11, 0
	v_mov_b32_e32 v12, 0
	s_and_saveexec_b64 s[24:25], s[2:3]
	s_cbranch_execz .LBB48_12
; %bb.11:                               ;   in Loop: Header=BB48_10 Depth=2
	v_ashrrev_i32_e32 v14, 31, v13
	v_lshlrev_b64 v[9:10], 2, v[13:14]
	v_mov_b32_e32 v5, s11
	v_add_co_u32_e64 v9, s[2:3], s10, v9
	v_lshlrev_b32_e32 v11, 2, v13
	v_addc_co_u32_e64 v10, s[2:3], v5, v10, s[2:3]
	v_or_b32_e32 v5, v11, v16
	global_load_dword v31, v[9:10], off
	v_lshlrev_b64 v[9:10], 3, v[5:6]
	v_mov_b32_e32 v5, s13
	v_add_co_u32_e64 v13, s[2:3], s12, v9
	v_addc_co_u32_e64 v14, s[2:3], v5, v10, s[2:3]
	v_or_b32_e32 v5, v11, v23
	v_lshlrev_b64 v[9:10], 3, v[5:6]
	v_mov_b32_e32 v5, s13
	v_add_co_u32_e64 v29, s[2:3], s12, v9
	v_addc_co_u32_e64 v30, s[2:3], v5, v10, s[2:3]
	global_load_dwordx2 v[9:10], v[13:14], off
	global_load_dwordx2 v[11:12], v[29:30], off
	s_waitcnt vmcnt(2)
	v_subrev_u32_e32 v5, s17, v31
	v_lshlrev_b32_e32 v5, 1, v5
.LBB48_12:                              ;   in Loop: Header=BB48_10 Depth=2
	s_or_b64 exec, exec, s[24:25]
	v_lshl_or_b32 v13, v0, 2, v15
	ds_write_b32 v13, v5
	v_mul_u32_u24_e32 v5, 24, v0
	s_waitcnt vmcnt(0)
	ds_write2_b64 v5, v[9:10], v[11:12] offset1:1
	s_waitcnt lgkmcnt(0)
	; wave barrier
	s_and_saveexec_b64 s[24:25], vcc
	s_cbranch_execz .LBB48_9
; %bb.13:                               ;   in Loop: Header=BB48_10 Depth=2
	s_mov_b32 s16, 0
	v_mov_b32_e32 v5, 0
.LBB48_14:                              ;   Parent Loop BB48_7 Depth=1
                                        ;     Parent Loop BB48_10 Depth=2
                                        ; =>    This Inner Loop Header: Depth=3
	v_add_u32_e32 v9, s16, v15
	ds_read_b64 v[13:14], v9
	s_add_i32 s16, s16, 8
	s_cmpk_lg_i32 s16, 0x100
	s_waitcnt lgkmcnt(0)
	v_ashrrev_i32_e32 v9, 31, v13
	v_mul_lo_u32 v11, s6, v9
	v_mul_lo_u32 v12, s7, v13
	v_mad_u64_u32 v[9:10], s[2:3], s6, v13, 0
	v_add3_u32 v10, v10, v11, v12
	v_lshlrev_b64 v[9:10], 3, v[9:10]
	v_add_co_u32_e64 v9, s[2:3], v25, v9
	v_addc_co_u32_e64 v10, s[2:3], v26, v10, s[2:3]
	global_load_dwordx2 v[29:30], v[9:10], off
	ds_read_b128 v[9:12], v5
	s_waitcnt vmcnt(0) lgkmcnt(0)
	v_fmac_f32_e32 v24, v10, v29
	v_fmac_f32_e32 v28, v9, v29
	;; [unrolled: 1-line block ×3, first 2 shown]
	v_add_u32_e32 v9, 1, v13
	v_fma_f32 v28, -v10, v30, v28
	v_ashrrev_i32_e32 v10, 31, v9
	v_mul_lo_u32 v13, s6, v10
	v_mul_lo_u32 v29, s7, v9
	v_mad_u64_u32 v[9:10], s[2:3], s6, v9, 0
	v_add3_u32 v10, v10, v13, v29
	v_lshlrev_b64 v[9:10], 3, v[9:10]
	v_add_co_u32_e64 v9, s[2:3], v25, v9
	v_addc_co_u32_e64 v10, s[2:3], v26, v10, s[2:3]
	global_load_dwordx2 v[9:10], v[9:10], off
	s_waitcnt vmcnt(0)
	v_fmac_f32_e32 v28, v11, v9
	v_fmac_f32_e32 v24, v12, v9
	v_ashrrev_i32_e32 v9, 31, v14
	v_fma_f32 v13, -v12, v10, v28
	v_fmac_f32_e32 v24, v11, v10
	v_mul_lo_u32 v11, s6, v9
	v_mul_lo_u32 v12, s7, v14
	v_mad_u64_u32 v[9:10], s[2:3], s6, v14, 0
	v_add3_u32 v10, v10, v11, v12
	v_lshlrev_b64 v[9:10], 3, v[9:10]
	v_add_co_u32_e64 v9, s[2:3], v25, v9
	v_addc_co_u32_e64 v10, s[2:3], v26, v10, s[2:3]
	global_load_dwordx2 v[28:29], v[9:10], off
	ds_read2_b64 v[9:12], v5 offset0:3 offset1:4
	v_add_u32_e32 v5, 48, v5
	s_waitcnt vmcnt(0) lgkmcnt(0)
	v_fmac_f32_e32 v24, v10, v28
	v_fmac_f32_e32 v13, v9, v28
	;; [unrolled: 1-line block ×3, first 2 shown]
	v_add_u32_e32 v9, 1, v14
	v_fma_f32 v13, -v10, v29, v13
	v_ashrrev_i32_e32 v10, 31, v9
	v_mul_lo_u32 v14, s6, v10
	v_mul_lo_u32 v28, s7, v9
	v_mad_u64_u32 v[9:10], s[2:3], s6, v9, 0
	v_add3_u32 v10, v10, v14, v28
	v_lshlrev_b64 v[9:10], 3, v[9:10]
	v_add_co_u32_e64 v9, s[2:3], v25, v9
	v_addc_co_u32_e64 v10, s[2:3], v26, v10, s[2:3]
	global_load_dwordx2 v[9:10], v[9:10], off
	s_waitcnt vmcnt(0)
	v_fmac_f32_e32 v13, v11, v9
	v_fmac_f32_e32 v24, v12, v9
	v_fma_f32 v28, -v12, v10, v13
	v_fmac_f32_e32 v24, v11, v10
	s_cbranch_scc1 .LBB48_14
	s_branch .LBB48_9
.LBB48_15:                              ;   in Loop: Header=BB48_7 Depth=1
	s_or_b64 exec, exec, s[20:21]
.LBB48_16:                              ;   in Loop: Header=BB48_7 Depth=1
	s_or_b64 exec, exec, s[18:19]
	v_cmp_gt_i32_e32 vcc, s22, v7
	s_and_saveexec_b64 s[2:3], vcc
	s_cbranch_execz .LBB48_6
; %bb.17:                               ;   in Loop: Header=BB48_7 Depth=1
	s_and_saveexec_b64 s[18:19], s[4:5]
	s_xor_b64 s[18:19], exec, s[18:19]
	s_cbranch_execz .LBB48_22
; %bb.18:                               ;   in Loop: Header=BB48_7 Depth=1
	s_mov_b64 s[20:21], -1
	s_and_b64 vcc, exec, s[8:9]
	s_cbranch_vccz .LBB48_20
; %bb.19:                               ;   in Loop: Header=BB48_7 Depth=1
	v_lshlrev_b64 v[9:10], 3, v[7:8]
	v_mul_f32_e64 v5, v24, -v2
	v_add_co_u32_e32 v9, vcc, v19, v9
	v_addc_co_u32_e32 v10, vcc, v20, v10, vcc
	global_load_dwordx2 v[11:12], v[9:10], off
	v_mul_f32_e32 v14, v1, v24
	v_fmac_f32_e32 v5, v1, v28
	v_fmac_f32_e32 v14, v2, v28
	s_mov_b64 s[20:21], 0
	s_waitcnt vmcnt(0)
	v_fmac_f32_e32 v5, v3, v11
	v_fmac_f32_e32 v14, v4, v11
	v_fma_f32 v13, -v4, v12, v5
	v_fmac_f32_e32 v14, v3, v12
	global_store_dwordx2 v[9:10], v[13:14], off
.LBB48_20:                              ;   in Loop: Header=BB48_7 Depth=1
	s_andn2_b64 vcc, exec, s[20:21]
	s_cbranch_vccnz .LBB48_22
; %bb.21:                               ;   in Loop: Header=BB48_7 Depth=1
	v_mul_lo_u32 v5, s27, v7
	v_mul_lo_u32 v9, s26, v8
	v_mad_u64_u32 v[7:8], s[20:21], s26, v7, 0
	v_mul_f32_e32 v12, v1, v24
	v_fmac_f32_e32 v12, v2, v28
	v_add3_u32 v8, v8, v9, v5
	v_lshlrev_b64 v[7:8], 3, v[7:8]
	v_mul_f32_e64 v5, v24, -v2
	v_add_co_u32_e32 v7, vcc, v17, v7
	v_addc_co_u32_e32 v8, vcc, v18, v8, vcc
	global_load_dwordx2 v[9:10], v[7:8], off
	v_fmac_f32_e32 v5, v1, v28
                                        ; implicit-def: $vgpr24
                                        ; implicit-def: $vgpr28
	s_waitcnt vmcnt(0)
	v_fmac_f32_e32 v5, v3, v9
	v_fmac_f32_e32 v12, v4, v9
	v_fma_f32 v11, -v4, v10, v5
	v_fmac_f32_e32 v12, v3, v10
	global_store_dwordx2 v[7:8], v[11:12], off
                                        ; implicit-def: $vgpr7
.LBB48_22:                              ;   in Loop: Header=BB48_7 Depth=1
	s_andn2_saveexec_b64 s[18:19], s[18:19]
	s_cbranch_execz .LBB48_6
; %bb.23:                               ;   in Loop: Header=BB48_7 Depth=1
	v_mul_f32_e64 v9, v24, -v2
	v_mul_f32_e32 v10, v1, v24
	v_fmac_f32_e32 v9, v1, v28
	v_fmac_f32_e32 v10, v2, v28
	s_mov_b64 s[18:19], -1
	s_and_b64 vcc, exec, s[8:9]
	s_cbranch_vccz .LBB48_25
; %bb.24:                               ;   in Loop: Header=BB48_7 Depth=1
	v_lshlrev_b64 v[11:12], 3, v[7:8]
	s_mov_b64 s[18:19], 0
	v_add_co_u32_e32 v11, vcc, v19, v11
	v_addc_co_u32_e32 v12, vcc, v20, v12, vcc
	global_store_dwordx2 v[11:12], v[9:10], off
.LBB48_25:                              ;   in Loop: Header=BB48_7 Depth=1
	s_andn2_b64 vcc, exec, s[18:19]
	s_cbranch_vccnz .LBB48_6
; %bb.26:                               ;   in Loop: Header=BB48_7 Depth=1
	v_mul_lo_u32 v5, s27, v7
	v_mul_lo_u32 v11, s26, v8
	v_mad_u64_u32 v[7:8], s[18:19], s26, v7, 0
	v_add3_u32 v8, v8, v11, v5
	v_lshlrev_b64 v[7:8], 3, v[7:8]
	v_add_co_u32_e32 v7, vcc, v17, v7
	v_addc_co_u32_e32 v8, vcc, v18, v8, vcc
	global_store_dwordx2 v[7:8], v[9:10], off
	s_branch .LBB48_6
.LBB48_27:
	s_endpgm
	.section	.rodata,"a",@progbits
	.p2align	6, 0x0
	.amdhsa_kernel _ZN9rocsparseL29bsrmmnt_small_blockdim_kernelILj64ELj64ELj2Eii21rocsparse_complex_numIfES2_S2_S2_EEv20rocsparse_direction_T3_S4_llNS_24const_host_device_scalarIT7_EEPKT2_PKS4_PKT4_PKT5_llS7_PT6_ll16rocsparse_order_21rocsparse_index_base_b
		.amdhsa_group_segment_fixed_size 1792
		.amdhsa_private_segment_fixed_size 0
		.amdhsa_kernarg_size 392
		.amdhsa_user_sgpr_count 6
		.amdhsa_user_sgpr_private_segment_buffer 1
		.amdhsa_user_sgpr_dispatch_ptr 0
		.amdhsa_user_sgpr_queue_ptr 0
		.amdhsa_user_sgpr_kernarg_segment_ptr 1
		.amdhsa_user_sgpr_dispatch_id 0
		.amdhsa_user_sgpr_flat_scratch_init 0
		.amdhsa_user_sgpr_private_segment_size 0
		.amdhsa_uses_dynamic_stack 0
		.amdhsa_system_sgpr_private_segment_wavefront_offset 0
		.amdhsa_system_sgpr_workgroup_id_x 1
		.amdhsa_system_sgpr_workgroup_id_y 0
		.amdhsa_system_sgpr_workgroup_id_z 0
		.amdhsa_system_sgpr_workgroup_info 0
		.amdhsa_system_vgpr_workitem_id 0
		.amdhsa_next_free_vgpr 32
		.amdhsa_next_free_sgpr 61
		.amdhsa_reserve_vcc 1
		.amdhsa_reserve_flat_scratch 0
		.amdhsa_float_round_mode_32 0
		.amdhsa_float_round_mode_16_64 0
		.amdhsa_float_denorm_mode_32 3
		.amdhsa_float_denorm_mode_16_64 3
		.amdhsa_dx10_clamp 1
		.amdhsa_ieee_mode 1
		.amdhsa_fp16_overflow 0
		.amdhsa_exception_fp_ieee_invalid_op 0
		.amdhsa_exception_fp_denorm_src 0
		.amdhsa_exception_fp_ieee_div_zero 0
		.amdhsa_exception_fp_ieee_overflow 0
		.amdhsa_exception_fp_ieee_underflow 0
		.amdhsa_exception_fp_ieee_inexact 0
		.amdhsa_exception_int_div_zero 0
	.end_amdhsa_kernel
	.section	.text._ZN9rocsparseL29bsrmmnt_small_blockdim_kernelILj64ELj64ELj2Eii21rocsparse_complex_numIfES2_S2_S2_EEv20rocsparse_direction_T3_S4_llNS_24const_host_device_scalarIT7_EEPKT2_PKS4_PKT4_PKT5_llS7_PT6_ll16rocsparse_order_21rocsparse_index_base_b,"axG",@progbits,_ZN9rocsparseL29bsrmmnt_small_blockdim_kernelILj64ELj64ELj2Eii21rocsparse_complex_numIfES2_S2_S2_EEv20rocsparse_direction_T3_S4_llNS_24const_host_device_scalarIT7_EEPKT2_PKS4_PKT4_PKT5_llS7_PT6_ll16rocsparse_order_21rocsparse_index_base_b,comdat
.Lfunc_end48:
	.size	_ZN9rocsparseL29bsrmmnt_small_blockdim_kernelILj64ELj64ELj2Eii21rocsparse_complex_numIfES2_S2_S2_EEv20rocsparse_direction_T3_S4_llNS_24const_host_device_scalarIT7_EEPKT2_PKS4_PKT4_PKT5_llS7_PT6_ll16rocsparse_order_21rocsparse_index_base_b, .Lfunc_end48-_ZN9rocsparseL29bsrmmnt_small_blockdim_kernelILj64ELj64ELj2Eii21rocsparse_complex_numIfES2_S2_S2_EEv20rocsparse_direction_T3_S4_llNS_24const_host_device_scalarIT7_EEPKT2_PKS4_PKT4_PKT5_llS7_PT6_ll16rocsparse_order_21rocsparse_index_base_b
                                        ; -- End function
	.set _ZN9rocsparseL29bsrmmnt_small_blockdim_kernelILj64ELj64ELj2Eii21rocsparse_complex_numIfES2_S2_S2_EEv20rocsparse_direction_T3_S4_llNS_24const_host_device_scalarIT7_EEPKT2_PKS4_PKT4_PKT5_llS7_PT6_ll16rocsparse_order_21rocsparse_index_base_b.num_vgpr, 32
	.set _ZN9rocsparseL29bsrmmnt_small_blockdim_kernelILj64ELj64ELj2Eii21rocsparse_complex_numIfES2_S2_S2_EEv20rocsparse_direction_T3_S4_llNS_24const_host_device_scalarIT7_EEPKT2_PKS4_PKT4_PKT5_llS7_PT6_ll16rocsparse_order_21rocsparse_index_base_b.num_agpr, 0
	.set _ZN9rocsparseL29bsrmmnt_small_blockdim_kernelILj64ELj64ELj2Eii21rocsparse_complex_numIfES2_S2_S2_EEv20rocsparse_direction_T3_S4_llNS_24const_host_device_scalarIT7_EEPKT2_PKS4_PKT4_PKT5_llS7_PT6_ll16rocsparse_order_21rocsparse_index_base_b.numbered_sgpr, 28
	.set _ZN9rocsparseL29bsrmmnt_small_blockdim_kernelILj64ELj64ELj2Eii21rocsparse_complex_numIfES2_S2_S2_EEv20rocsparse_direction_T3_S4_llNS_24const_host_device_scalarIT7_EEPKT2_PKS4_PKT4_PKT5_llS7_PT6_ll16rocsparse_order_21rocsparse_index_base_b.num_named_barrier, 0
	.set _ZN9rocsparseL29bsrmmnt_small_blockdim_kernelILj64ELj64ELj2Eii21rocsparse_complex_numIfES2_S2_S2_EEv20rocsparse_direction_T3_S4_llNS_24const_host_device_scalarIT7_EEPKT2_PKS4_PKT4_PKT5_llS7_PT6_ll16rocsparse_order_21rocsparse_index_base_b.private_seg_size, 0
	.set _ZN9rocsparseL29bsrmmnt_small_blockdim_kernelILj64ELj64ELj2Eii21rocsparse_complex_numIfES2_S2_S2_EEv20rocsparse_direction_T3_S4_llNS_24const_host_device_scalarIT7_EEPKT2_PKS4_PKT4_PKT5_llS7_PT6_ll16rocsparse_order_21rocsparse_index_base_b.uses_vcc, 1
	.set _ZN9rocsparseL29bsrmmnt_small_blockdim_kernelILj64ELj64ELj2Eii21rocsparse_complex_numIfES2_S2_S2_EEv20rocsparse_direction_T3_S4_llNS_24const_host_device_scalarIT7_EEPKT2_PKS4_PKT4_PKT5_llS7_PT6_ll16rocsparse_order_21rocsparse_index_base_b.uses_flat_scratch, 0
	.set _ZN9rocsparseL29bsrmmnt_small_blockdim_kernelILj64ELj64ELj2Eii21rocsparse_complex_numIfES2_S2_S2_EEv20rocsparse_direction_T3_S4_llNS_24const_host_device_scalarIT7_EEPKT2_PKS4_PKT4_PKT5_llS7_PT6_ll16rocsparse_order_21rocsparse_index_base_b.has_dyn_sized_stack, 0
	.set _ZN9rocsparseL29bsrmmnt_small_blockdim_kernelILj64ELj64ELj2Eii21rocsparse_complex_numIfES2_S2_S2_EEv20rocsparse_direction_T3_S4_llNS_24const_host_device_scalarIT7_EEPKT2_PKS4_PKT4_PKT5_llS7_PT6_ll16rocsparse_order_21rocsparse_index_base_b.has_recursion, 0
	.set _ZN9rocsparseL29bsrmmnt_small_blockdim_kernelILj64ELj64ELj2Eii21rocsparse_complex_numIfES2_S2_S2_EEv20rocsparse_direction_T3_S4_llNS_24const_host_device_scalarIT7_EEPKT2_PKS4_PKT4_PKT5_llS7_PT6_ll16rocsparse_order_21rocsparse_index_base_b.has_indirect_call, 0
	.section	.AMDGPU.csdata,"",@progbits
; Kernel info:
; codeLenInByte = 1592
; TotalNumSgprs: 32
; NumVgprs: 32
; ScratchSize: 0
; MemoryBound: 0
; FloatMode: 240
; IeeeMode: 1
; LDSByteSize: 1792 bytes/workgroup (compile time only)
; SGPRBlocks: 8
; VGPRBlocks: 7
; NumSGPRsForWavesPerEU: 65
; NumVGPRsForWavesPerEU: 32
; Occupancy: 8
; WaveLimiterHint : 0
; COMPUTE_PGM_RSRC2:SCRATCH_EN: 0
; COMPUTE_PGM_RSRC2:USER_SGPR: 6
; COMPUTE_PGM_RSRC2:TRAP_HANDLER: 0
; COMPUTE_PGM_RSRC2:TGID_X_EN: 1
; COMPUTE_PGM_RSRC2:TGID_Y_EN: 0
; COMPUTE_PGM_RSRC2:TGID_Z_EN: 0
; COMPUTE_PGM_RSRC2:TIDIG_COMP_CNT: 0
	.section	.text._ZN9rocsparseL29bsrmmnt_small_blockdim_kernelILj64ELj8ELj2Eli21rocsparse_complex_numIfES2_S2_S2_EEv20rocsparse_direction_T3_S4_llNS_24const_host_device_scalarIT7_EEPKT2_PKS4_PKT4_PKT5_llS7_PT6_ll16rocsparse_order_21rocsparse_index_base_b,"axG",@progbits,_ZN9rocsparseL29bsrmmnt_small_blockdim_kernelILj64ELj8ELj2Eli21rocsparse_complex_numIfES2_S2_S2_EEv20rocsparse_direction_T3_S4_llNS_24const_host_device_scalarIT7_EEPKT2_PKS4_PKT4_PKT5_llS7_PT6_ll16rocsparse_order_21rocsparse_index_base_b,comdat
	.globl	_ZN9rocsparseL29bsrmmnt_small_blockdim_kernelILj64ELj8ELj2Eli21rocsparse_complex_numIfES2_S2_S2_EEv20rocsparse_direction_T3_S4_llNS_24const_host_device_scalarIT7_EEPKT2_PKS4_PKT4_PKT5_llS7_PT6_ll16rocsparse_order_21rocsparse_index_base_b ; -- Begin function _ZN9rocsparseL29bsrmmnt_small_blockdim_kernelILj64ELj8ELj2Eli21rocsparse_complex_numIfES2_S2_S2_EEv20rocsparse_direction_T3_S4_llNS_24const_host_device_scalarIT7_EEPKT2_PKS4_PKT4_PKT5_llS7_PT6_ll16rocsparse_order_21rocsparse_index_base_b
	.p2align	8
	.type	_ZN9rocsparseL29bsrmmnt_small_blockdim_kernelILj64ELj8ELj2Eli21rocsparse_complex_numIfES2_S2_S2_EEv20rocsparse_direction_T3_S4_llNS_24const_host_device_scalarIT7_EEPKT2_PKS4_PKT4_PKT5_llS7_PT6_ll16rocsparse_order_21rocsparse_index_base_b,@function
_ZN9rocsparseL29bsrmmnt_small_blockdim_kernelILj64ELj8ELj2Eli21rocsparse_complex_numIfES2_S2_S2_EEv20rocsparse_direction_T3_S4_llNS_24const_host_device_scalarIT7_EEPKT2_PKS4_PKT4_PKT5_llS7_PT6_ll16rocsparse_order_21rocsparse_index_base_b: ; @_ZN9rocsparseL29bsrmmnt_small_blockdim_kernelILj64ELj8ELj2Eli21rocsparse_complex_numIfES2_S2_S2_EEv20rocsparse_direction_T3_S4_llNS_24const_host_device_scalarIT7_EEPKT2_PKS4_PKT4_PKT5_llS7_PT6_ll16rocsparse_order_21rocsparse_index_base_b
; %bb.0:
	s_load_dwordx2 s[0:1], s[4:5], 0x20
	s_load_dwordx2 s[2:3], s[4:5], 0x58
	s_load_dwordx4 s[16:19], s[4:5], 0x78
	s_add_u32 s7, s4, 32
	s_addc_u32 s8, s5, 0
	s_add_u32 s9, s4, 0x58
	s_addc_u32 s10, s5, 0
	s_waitcnt lgkmcnt(0)
	s_bitcmp1_b32 s18, 0
	s_cselect_b32 s1, s8, s1
	s_cselect_b32 s0, s7, s0
	v_mov_b32_e32 v1, s0
	v_mov_b32_e32 v2, s1
	flat_load_dwordx2 v[1:2], v[1:2]
	s_cselect_b32 s0, s10, s3
	s_cselect_b32 s1, s9, s2
	v_mov_b32_e32 v3, s1
	v_mov_b32_e32 v4, s0
	flat_load_dwordx2 v[3:4], v[3:4]
	s_waitcnt vmcnt(0) lgkmcnt(0)
	v_cmp_eq_f32_e32 vcc, 0, v1
	v_cmp_eq_f32_e64 s[0:1], 0, v2
	s_and_b64 s[8:9], vcc, s[0:1]
	s_mov_b64 s[0:1], -1
	s_and_saveexec_b64 s[2:3], s[8:9]
; %bb.1:
	v_cmp_neq_f32_e32 vcc, 1.0, v3
	v_cmp_neq_f32_e64 s[0:1], 0, v4
	s_or_b64 s[0:1], vcc, s[0:1]
	s_orn2_b64 s[0:1], s[0:1], exec
; %bb.2:
	s_or_b64 exec, exec, s[2:3]
	s_and_saveexec_b64 s[2:3], s[0:1]
	s_cbranch_execz .LBB49_27
; %bb.3:
	s_load_dword s0, s[4:5], 0x94
	s_load_dwordx4 s[20:23], s[4:5], 0x0
	s_waitcnt lgkmcnt(0)
	s_and_b32 s0, s0, 0xffff
	s_mul_i32 s6, s6, s0
	v_add_u32_e32 v5, s6, v0
	v_lshrrev_b32_e32 v6, 4, v5
	v_cmp_gt_i32_e32 vcc, s21, v6
	s_and_b64 exec, exec, vcc
	s_cbranch_execz .LBB49_27
; %bb.4:
	s_cmp_lt_i32 s22, 1
	s_cbranch_scc1 .LBB49_27
; %bb.5:
	s_load_dwordx8 s[8:15], s[4:5], 0x28
	v_lshlrev_b32_e32 v6, 3, v6
	v_lshrrev_b32_e32 v7, 3, v5
	v_and_b32_e32 v19, 7, v0
	v_cmp_neq_f32_e32 vcc, 0, v3
	s_waitcnt lgkmcnt(0)
	global_load_dwordx4 v[9:12], v6, s[8:9]
	s_load_dwordx4 s[24:27], s[4:5], 0x60
	s_load_dwordx2 s[6:7], s[4:5], 0x48
	v_lshrrev_b32_e32 v6, 3, v0
	v_mov_b32_e32 v0, 0x600
	v_cmp_neq_f32_e64 s[0:1], 0, v4
	v_bfe_u32 v8, v5, 3, 1
	v_and_b32_e32 v13, -8, v5
	v_lshl_or_b32 v0, v6, 5, v0
	s_or_b64 s[4:5], vcc, s[0:1]
	v_mul_u32_u24_e32 v20, 0xc0, v6
	s_waitcnt lgkmcnt(0)
	v_mad_u64_u32 v[5:6], s[2:3], s26, v7, 0
	s_cmp_lg_u32 s16, 1
	s_cselect_b64 s[8:9], -1, 0
	s_cmp_eq_u32 s20, 0
	s_cselect_b64 s[0:1], -1, 0
	v_cndmask_b32_e64 v15, 0, 1, s[0:1]
	s_and_b64 s[0:1], s[0:1], exec
	v_mad_u64_u32 v[6:7], s[0:1], s27, v7, v[6:7]
	v_mov_b32_e32 v17, s25
	v_lshlrev_b32_e32 v8, v15, v8
	v_add_co_u32_e32 v21, vcc, s24, v13
	v_addc_co_u32_e32 v22, vcc, 0, v17, vcc
	v_lshlrev_b32_e32 v8, 3, v8
	v_mov_b32_e32 v15, s13
	v_add_co_u32_e32 v23, vcc, s12, v8
	v_lshlrev_b64 v[5:6], 3, v[5:6]
	v_addc_co_u32_e32 v24, vcc, 0, v15, vcc
	v_mov_b32_e32 v16, s25
	v_add_co_u32_e32 v25, vcc, s24, v5
	v_addc_co_u32_e32 v26, vcc, v16, v6, vcc
	v_mul_u32_u24_e32 v14, 24, v19
	s_mov_b32 s23, 0
	s_cselect_b32 s16, 8, 16
	s_cselect_b32 s24, 12, 20
	v_add_u32_e32 v27, v20, v14
	s_waitcnt vmcnt(0)
	v_subrev_co_u32_e32 v5, vcc, s17, v9
	v_subbrev_co_u32_e32 v6, vcc, 0, v10, vcc
	v_subrev_co_u32_e32 v7, vcc, s17, v11
	v_cmp_lt_i64_e64 s[0:1], v[9:10], v[11:12]
	v_subbrev_co_u32_e32 v8, vcc, 0, v12, vcc
	s_branch .LBB49_7
.LBB49_6:                               ;   in Loop: Header=BB49_7 Depth=1
	s_or_b64 exec, exec, s[2:3]
	s_add_i32 s23, s23, 8
	s_cmp_lt_i32 s23, s22
	s_cbranch_scc0 .LBB49_27
.LBB49_7:                               ; =>This Loop Header: Depth=1
                                        ;     Child Loop BB49_10 Depth 2
                                        ;       Child Loop BB49_14 Depth 3
	v_or_b32_e32 v9, s23, v19
	v_ashrrev_i32_e32 v10, 31, v9
	v_mov_b32_e32 v28, 0
	v_mov_b32_e32 v31, 0
	s_and_saveexec_b64 s[12:13], s[0:1]
	s_cbranch_execz .LBB49_16
; %bb.8:                                ;   in Loop: Header=BB49_7 Depth=1
	v_lshlrev_b64 v[11:12], 3, v[9:10]
	v_mov_b32_e32 v13, s15
	v_add_co_u32_e64 v29, s[2:3], s14, v11
	v_addc_co_u32_e64 v30, s[2:3], v13, v12, s[2:3]
	v_mov_b32_e32 v12, v6
	v_cmp_gt_i32_e32 vcc, s22, v9
	v_mov_b32_e32 v28, 0
	s_mov_b64 s[18:19], 0
	v_mov_b32_e32 v11, v5
	v_mov_b32_e32 v31, 0
	s_branch .LBB49_10
.LBB49_9:                               ;   in Loop: Header=BB49_10 Depth=2
	s_or_b64 exec, exec, s[20:21]
	v_add_co_u32_e64 v11, s[2:3], 8, v11
	v_addc_co_u32_e64 v12, s[2:3], 0, v12, s[2:3]
	v_cmp_ge_i64_e64 s[2:3], v[11:12], v[7:8]
	s_or_b64 s[18:19], s[2:3], s[18:19]
	s_andn2_b64 exec, exec, s[18:19]
	s_cbranch_execz .LBB49_15
.LBB49_10:                              ;   Parent Loop BB49_7 Depth=1
                                        ; =>  This Loop Header: Depth=2
                                        ;       Child Loop BB49_14 Depth 3
	v_add_co_u32_e64 v17, s[2:3], v11, v19
	v_addc_co_u32_e64 v18, s[2:3], 0, v12, s[2:3]
	v_cmp_lt_i64_e64 s[2:3], v[17:18], v[7:8]
	v_mov_b32_e32 v32, 0
	v_mov_b32_e32 v13, 0
	;; [unrolled: 1-line block ×5, first 2 shown]
	s_and_saveexec_b64 s[20:21], s[2:3]
	s_cbranch_execz .LBB49_12
; %bb.11:                               ;   in Loop: Header=BB49_10 Depth=2
	v_lshlrev_b64 v[13:14], 2, v[17:18]
	v_mov_b32_e32 v15, s11
	v_add_co_u32_e64 v13, s[2:3], s10, v13
	v_addc_co_u32_e64 v14, s[2:3], v15, v14, s[2:3]
	global_load_dword v36, v[13:14], off
	v_lshlrev_b64 v[13:14], 5, v[17:18]
	v_add_co_u32_e64 v16, s[2:3], v23, v13
	v_addc_co_u32_e64 v17, s[2:3], v24, v14, s[2:3]
	v_add_co_u32_e64 v32, s[2:3], s16, v16
	v_addc_co_u32_e64 v33, s[2:3], 0, v17, s[2:3]
	;; [unrolled: 2-line block ×3, first 2 shown]
	global_load_dwordx2 v[13:14], v[16:17], off
	global_load_dword v15, v[32:33], off
                                        ; kill: killed $vgpr32 killed $vgpr33
                                        ; kill: killed $vgpr16 killed $vgpr17
	s_nop 0
	global_load_dword v16, v[34:35], off
	s_waitcnt vmcnt(3)
	v_subrev_u32_e32 v17, s17, v36
	v_lshlrev_b32_e32 v32, 1, v17
.LBB49_12:                              ;   in Loop: Header=BB49_10 Depth=2
	s_or_b64 exec, exec, s[20:21]
	v_lshl_or_b32 v17, v19, 2, v0
	ds_write_b32 v17, v32
	s_waitcnt vmcnt(0)
	ds_write2_b64 v27, v[13:14], v[15:16] offset1:1
	s_waitcnt lgkmcnt(0)
	; wave barrier
	s_and_saveexec_b64 s[20:21], vcc
	s_cbranch_execz .LBB49_9
; %bb.13:                               ;   in Loop: Header=BB49_10 Depth=2
	s_mov_b32 s25, 0
	v_mov_b32_e32 v13, v20
.LBB49_14:                              ;   Parent Loop BB49_7 Depth=1
                                        ;     Parent Loop BB49_10 Depth=2
                                        ; =>    This Inner Loop Header: Depth=3
	v_add_u32_e32 v14, s25, v0
	ds_read_b64 v[32:33], v14
	s_add_i32 s25, s25, 8
	s_cmp_lg_u32 s25, 32
	s_waitcnt lgkmcnt(0)
	v_ashrrev_i32_e32 v14, 31, v32
	v_mul_lo_u32 v16, s6, v14
	v_mul_lo_u32 v17, s7, v32
	v_mad_u64_u32 v[14:15], s[2:3], s6, v32, 0
	v_add3_u32 v15, v15, v16, v17
	v_lshlrev_b64 v[14:15], 3, v[14:15]
	v_add_co_u32_e64 v14, s[2:3], v29, v14
	v_addc_co_u32_e64 v15, s[2:3], v30, v15, s[2:3]
	global_load_dwordx2 v[34:35], v[14:15], off
	ds_read_b128 v[14:17], v13
	s_waitcnt vmcnt(0) lgkmcnt(0)
	v_fmac_f32_e32 v28, v15, v34
	v_fmac_f32_e32 v31, v14, v34
	;; [unrolled: 1-line block ×3, first 2 shown]
	v_add_u32_e32 v14, 1, v32
	v_fma_f32 v18, -v15, v35, v31
	v_ashrrev_i32_e32 v15, 31, v14
	v_mul_lo_u32 v31, s6, v15
	v_mul_lo_u32 v32, s7, v14
	v_mad_u64_u32 v[14:15], s[2:3], s6, v14, 0
	v_add3_u32 v15, v15, v31, v32
	v_lshlrev_b64 v[14:15], 3, v[14:15]
	v_add_co_u32_e64 v14, s[2:3], v29, v14
	v_addc_co_u32_e64 v15, s[2:3], v30, v15, s[2:3]
	global_load_dwordx2 v[14:15], v[14:15], off
	s_waitcnt vmcnt(0)
	v_fmac_f32_e32 v18, v16, v14
	v_fmac_f32_e32 v28, v17, v14
	v_ashrrev_i32_e32 v14, 31, v33
	v_fma_f32 v18, -v17, v15, v18
	v_fmac_f32_e32 v28, v16, v15
	v_mul_lo_u32 v16, s6, v14
	v_mul_lo_u32 v17, s7, v33
	v_mad_u64_u32 v[14:15], s[2:3], s6, v33, 0
	v_add3_u32 v15, v15, v16, v17
	v_lshlrev_b64 v[14:15], 3, v[14:15]
	v_add_co_u32_e64 v14, s[2:3], v29, v14
	v_addc_co_u32_e64 v15, s[2:3], v30, v15, s[2:3]
	global_load_dwordx2 v[31:32], v[14:15], off
	ds_read2_b64 v[14:17], v13 offset0:3 offset1:4
	v_add_u32_e32 v13, 48, v13
	s_waitcnt vmcnt(0) lgkmcnt(0)
	v_fmac_f32_e32 v28, v15, v31
	v_fmac_f32_e32 v18, v14, v31
	;; [unrolled: 1-line block ×3, first 2 shown]
	v_add_u32_e32 v14, 1, v33
	v_fma_f32 v18, -v15, v32, v18
	v_ashrrev_i32_e32 v15, 31, v14
	v_mul_lo_u32 v31, s6, v15
	v_mul_lo_u32 v32, s7, v14
	v_mad_u64_u32 v[14:15], s[2:3], s6, v14, 0
	v_add3_u32 v15, v15, v31, v32
	v_lshlrev_b64 v[14:15], 3, v[14:15]
	v_add_co_u32_e64 v14, s[2:3], v29, v14
	v_addc_co_u32_e64 v15, s[2:3], v30, v15, s[2:3]
	global_load_dwordx2 v[14:15], v[14:15], off
	s_waitcnt vmcnt(0)
	v_fmac_f32_e32 v18, v16, v14
	v_fmac_f32_e32 v28, v17, v14
	v_fma_f32 v31, -v17, v15, v18
	v_fmac_f32_e32 v28, v16, v15
	s_cbranch_scc1 .LBB49_14
	s_branch .LBB49_9
.LBB49_15:                              ;   in Loop: Header=BB49_7 Depth=1
	s_or_b64 exec, exec, s[18:19]
.LBB49_16:                              ;   in Loop: Header=BB49_7 Depth=1
	s_or_b64 exec, exec, s[12:13]
	v_cmp_gt_i32_e32 vcc, s22, v9
	s_and_saveexec_b64 s[2:3], vcc
	s_cbranch_execz .LBB49_6
; %bb.17:                               ;   in Loop: Header=BB49_7 Depth=1
	s_and_saveexec_b64 s[12:13], s[4:5]
	s_xor_b64 s[12:13], exec, s[12:13]
	s_cbranch_execz .LBB49_22
; %bb.18:                               ;   in Loop: Header=BB49_7 Depth=1
	s_mov_b64 s[18:19], -1
	s_and_b64 vcc, exec, s[8:9]
	s_cbranch_vccz .LBB49_20
; %bb.19:                               ;   in Loop: Header=BB49_7 Depth=1
	v_lshlrev_b64 v[11:12], 3, v[9:10]
	v_mul_f32_e64 v15, v28, -v2
	v_add_co_u32_e32 v11, vcc, v25, v11
	v_addc_co_u32_e32 v12, vcc, v26, v12, vcc
	global_load_dwordx2 v[13:14], v[11:12], off
	v_mul_f32_e32 v16, v1, v28
	v_fmac_f32_e32 v15, v1, v31
	v_fmac_f32_e32 v16, v2, v31
	s_mov_b64 s[18:19], 0
	s_waitcnt vmcnt(0)
	v_fmac_f32_e32 v15, v3, v13
	v_fmac_f32_e32 v16, v4, v13
	v_fma_f32 v15, -v4, v14, v15
	v_fmac_f32_e32 v16, v3, v14
	global_store_dwordx2 v[11:12], v[15:16], off
.LBB49_20:                              ;   in Loop: Header=BB49_7 Depth=1
	s_andn2_b64 vcc, exec, s[18:19]
	s_cbranch_vccnz .LBB49_22
; %bb.21:                               ;   in Loop: Header=BB49_7 Depth=1
	v_mul_lo_u32 v11, s27, v9
	v_mul_lo_u32 v12, s26, v10
	v_mad_u64_u32 v[9:10], s[18:19], s26, v9, 0
	v_mul_f32_e64 v13, v28, -v2
	v_mul_f32_e32 v14, v1, v28
	v_add3_u32 v10, v10, v12, v11
	v_lshlrev_b64 v[9:10], 3, v[9:10]
	v_fmac_f32_e32 v13, v1, v31
	v_add_co_u32_e32 v9, vcc, v21, v9
	v_addc_co_u32_e32 v10, vcc, v22, v10, vcc
	global_load_dwordx2 v[11:12], v[9:10], off
	v_fmac_f32_e32 v14, v2, v31
                                        ; implicit-def: $vgpr28
                                        ; implicit-def: $vgpr31
	s_waitcnt vmcnt(0)
	v_fmac_f32_e32 v13, v3, v11
	v_fmac_f32_e32 v14, v4, v11
	v_fma_f32 v13, -v4, v12, v13
	v_fmac_f32_e32 v14, v3, v12
	global_store_dwordx2 v[9:10], v[13:14], off
                                        ; implicit-def: $vgpr9
.LBB49_22:                              ;   in Loop: Header=BB49_7 Depth=1
	s_andn2_saveexec_b64 s[12:13], s[12:13]
	s_cbranch_execz .LBB49_6
; %bb.23:                               ;   in Loop: Header=BB49_7 Depth=1
	v_mul_f32_e64 v11, v28, -v2
	v_mul_f32_e32 v12, v1, v28
	v_fmac_f32_e32 v11, v1, v31
	v_fmac_f32_e32 v12, v2, v31
	s_mov_b64 s[12:13], -1
	s_and_b64 vcc, exec, s[8:9]
	s_cbranch_vccz .LBB49_25
; %bb.24:                               ;   in Loop: Header=BB49_7 Depth=1
	v_lshlrev_b64 v[13:14], 3, v[9:10]
	s_mov_b64 s[12:13], 0
	v_add_co_u32_e32 v13, vcc, v25, v13
	v_addc_co_u32_e32 v14, vcc, v26, v14, vcc
	global_store_dwordx2 v[13:14], v[11:12], off
.LBB49_25:                              ;   in Loop: Header=BB49_7 Depth=1
	s_andn2_b64 vcc, exec, s[12:13]
	s_cbranch_vccnz .LBB49_6
; %bb.26:                               ;   in Loop: Header=BB49_7 Depth=1
	v_mul_lo_u32 v13, s27, v9
	v_mul_lo_u32 v14, s26, v10
	v_mad_u64_u32 v[9:10], s[12:13], s26, v9, 0
	v_add3_u32 v10, v10, v14, v13
	v_lshlrev_b64 v[9:10], 3, v[9:10]
	v_add_co_u32_e32 v9, vcc, v21, v9
	v_addc_co_u32_e32 v10, vcc, v22, v10, vcc
	global_store_dwordx2 v[9:10], v[11:12], off
	s_branch .LBB49_6
.LBB49_27:
	s_endpgm
	.section	.rodata,"a",@progbits
	.p2align	6, 0x0
	.amdhsa_kernel _ZN9rocsparseL29bsrmmnt_small_blockdim_kernelILj64ELj8ELj2Eli21rocsparse_complex_numIfES2_S2_S2_EEv20rocsparse_direction_T3_S4_llNS_24const_host_device_scalarIT7_EEPKT2_PKS4_PKT4_PKT5_llS7_PT6_ll16rocsparse_order_21rocsparse_index_base_b
		.amdhsa_group_segment_fixed_size 1792
		.amdhsa_private_segment_fixed_size 0
		.amdhsa_kernarg_size 392
		.amdhsa_user_sgpr_count 6
		.amdhsa_user_sgpr_private_segment_buffer 1
		.amdhsa_user_sgpr_dispatch_ptr 0
		.amdhsa_user_sgpr_queue_ptr 0
		.amdhsa_user_sgpr_kernarg_segment_ptr 1
		.amdhsa_user_sgpr_dispatch_id 0
		.amdhsa_user_sgpr_flat_scratch_init 0
		.amdhsa_user_sgpr_private_segment_size 0
		.amdhsa_uses_dynamic_stack 0
		.amdhsa_system_sgpr_private_segment_wavefront_offset 0
		.amdhsa_system_sgpr_workgroup_id_x 1
		.amdhsa_system_sgpr_workgroup_id_y 0
		.amdhsa_system_sgpr_workgroup_id_z 0
		.amdhsa_system_sgpr_workgroup_info 0
		.amdhsa_system_vgpr_workitem_id 0
		.amdhsa_next_free_vgpr 37
		.amdhsa_next_free_sgpr 61
		.amdhsa_reserve_vcc 1
		.amdhsa_reserve_flat_scratch 0
		.amdhsa_float_round_mode_32 0
		.amdhsa_float_round_mode_16_64 0
		.amdhsa_float_denorm_mode_32 3
		.amdhsa_float_denorm_mode_16_64 3
		.amdhsa_dx10_clamp 1
		.amdhsa_ieee_mode 1
		.amdhsa_fp16_overflow 0
		.amdhsa_exception_fp_ieee_invalid_op 0
		.amdhsa_exception_fp_denorm_src 0
		.amdhsa_exception_fp_ieee_div_zero 0
		.amdhsa_exception_fp_ieee_overflow 0
		.amdhsa_exception_fp_ieee_underflow 0
		.amdhsa_exception_fp_ieee_inexact 0
		.amdhsa_exception_int_div_zero 0
	.end_amdhsa_kernel
	.section	.text._ZN9rocsparseL29bsrmmnt_small_blockdim_kernelILj64ELj8ELj2Eli21rocsparse_complex_numIfES2_S2_S2_EEv20rocsparse_direction_T3_S4_llNS_24const_host_device_scalarIT7_EEPKT2_PKS4_PKT4_PKT5_llS7_PT6_ll16rocsparse_order_21rocsparse_index_base_b,"axG",@progbits,_ZN9rocsparseL29bsrmmnt_small_blockdim_kernelILj64ELj8ELj2Eli21rocsparse_complex_numIfES2_S2_S2_EEv20rocsparse_direction_T3_S4_llNS_24const_host_device_scalarIT7_EEPKT2_PKS4_PKT4_PKT5_llS7_PT6_ll16rocsparse_order_21rocsparse_index_base_b,comdat
.Lfunc_end49:
	.size	_ZN9rocsparseL29bsrmmnt_small_blockdim_kernelILj64ELj8ELj2Eli21rocsparse_complex_numIfES2_S2_S2_EEv20rocsparse_direction_T3_S4_llNS_24const_host_device_scalarIT7_EEPKT2_PKS4_PKT4_PKT5_llS7_PT6_ll16rocsparse_order_21rocsparse_index_base_b, .Lfunc_end49-_ZN9rocsparseL29bsrmmnt_small_blockdim_kernelILj64ELj8ELj2Eli21rocsparse_complex_numIfES2_S2_S2_EEv20rocsparse_direction_T3_S4_llNS_24const_host_device_scalarIT7_EEPKT2_PKS4_PKT4_PKT5_llS7_PT6_ll16rocsparse_order_21rocsparse_index_base_b
                                        ; -- End function
	.set _ZN9rocsparseL29bsrmmnt_small_blockdim_kernelILj64ELj8ELj2Eli21rocsparse_complex_numIfES2_S2_S2_EEv20rocsparse_direction_T3_S4_llNS_24const_host_device_scalarIT7_EEPKT2_PKS4_PKT4_PKT5_llS7_PT6_ll16rocsparse_order_21rocsparse_index_base_b.num_vgpr, 37
	.set _ZN9rocsparseL29bsrmmnt_small_blockdim_kernelILj64ELj8ELj2Eli21rocsparse_complex_numIfES2_S2_S2_EEv20rocsparse_direction_T3_S4_llNS_24const_host_device_scalarIT7_EEPKT2_PKS4_PKT4_PKT5_llS7_PT6_ll16rocsparse_order_21rocsparse_index_base_b.num_agpr, 0
	.set _ZN9rocsparseL29bsrmmnt_small_blockdim_kernelILj64ELj8ELj2Eli21rocsparse_complex_numIfES2_S2_S2_EEv20rocsparse_direction_T3_S4_llNS_24const_host_device_scalarIT7_EEPKT2_PKS4_PKT4_PKT5_llS7_PT6_ll16rocsparse_order_21rocsparse_index_base_b.numbered_sgpr, 28
	.set _ZN9rocsparseL29bsrmmnt_small_blockdim_kernelILj64ELj8ELj2Eli21rocsparse_complex_numIfES2_S2_S2_EEv20rocsparse_direction_T3_S4_llNS_24const_host_device_scalarIT7_EEPKT2_PKS4_PKT4_PKT5_llS7_PT6_ll16rocsparse_order_21rocsparse_index_base_b.num_named_barrier, 0
	.set _ZN9rocsparseL29bsrmmnt_small_blockdim_kernelILj64ELj8ELj2Eli21rocsparse_complex_numIfES2_S2_S2_EEv20rocsparse_direction_T3_S4_llNS_24const_host_device_scalarIT7_EEPKT2_PKS4_PKT4_PKT5_llS7_PT6_ll16rocsparse_order_21rocsparse_index_base_b.private_seg_size, 0
	.set _ZN9rocsparseL29bsrmmnt_small_blockdim_kernelILj64ELj8ELj2Eli21rocsparse_complex_numIfES2_S2_S2_EEv20rocsparse_direction_T3_S4_llNS_24const_host_device_scalarIT7_EEPKT2_PKS4_PKT4_PKT5_llS7_PT6_ll16rocsparse_order_21rocsparse_index_base_b.uses_vcc, 1
	.set _ZN9rocsparseL29bsrmmnt_small_blockdim_kernelILj64ELj8ELj2Eli21rocsparse_complex_numIfES2_S2_S2_EEv20rocsparse_direction_T3_S4_llNS_24const_host_device_scalarIT7_EEPKT2_PKS4_PKT4_PKT5_llS7_PT6_ll16rocsparse_order_21rocsparse_index_base_b.uses_flat_scratch, 0
	.set _ZN9rocsparseL29bsrmmnt_small_blockdim_kernelILj64ELj8ELj2Eli21rocsparse_complex_numIfES2_S2_S2_EEv20rocsparse_direction_T3_S4_llNS_24const_host_device_scalarIT7_EEPKT2_PKS4_PKT4_PKT5_llS7_PT6_ll16rocsparse_order_21rocsparse_index_base_b.has_dyn_sized_stack, 0
	.set _ZN9rocsparseL29bsrmmnt_small_blockdim_kernelILj64ELj8ELj2Eli21rocsparse_complex_numIfES2_S2_S2_EEv20rocsparse_direction_T3_S4_llNS_24const_host_device_scalarIT7_EEPKT2_PKS4_PKT4_PKT5_llS7_PT6_ll16rocsparse_order_21rocsparse_index_base_b.has_recursion, 0
	.set _ZN9rocsparseL29bsrmmnt_small_blockdim_kernelILj64ELj8ELj2Eli21rocsparse_complex_numIfES2_S2_S2_EEv20rocsparse_direction_T3_S4_llNS_24const_host_device_scalarIT7_EEPKT2_PKS4_PKT4_PKT5_llS7_PT6_ll16rocsparse_order_21rocsparse_index_base_b.has_indirect_call, 0
	.section	.AMDGPU.csdata,"",@progbits
; Kernel info:
; codeLenInByte = 1656
; TotalNumSgprs: 32
; NumVgprs: 37
; ScratchSize: 0
; MemoryBound: 0
; FloatMode: 240
; IeeeMode: 1
; LDSByteSize: 1792 bytes/workgroup (compile time only)
; SGPRBlocks: 8
; VGPRBlocks: 9
; NumSGPRsForWavesPerEU: 65
; NumVGPRsForWavesPerEU: 37
; Occupancy: 6
; WaveLimiterHint : 0
; COMPUTE_PGM_RSRC2:SCRATCH_EN: 0
; COMPUTE_PGM_RSRC2:USER_SGPR: 6
; COMPUTE_PGM_RSRC2:TRAP_HANDLER: 0
; COMPUTE_PGM_RSRC2:TGID_X_EN: 1
; COMPUTE_PGM_RSRC2:TGID_Y_EN: 0
; COMPUTE_PGM_RSRC2:TGID_Z_EN: 0
; COMPUTE_PGM_RSRC2:TIDIG_COMP_CNT: 0
	.section	.text._ZN9rocsparseL29bsrmmnt_small_blockdim_kernelILj64ELj16ELj2Eli21rocsparse_complex_numIfES2_S2_S2_EEv20rocsparse_direction_T3_S4_llNS_24const_host_device_scalarIT7_EEPKT2_PKS4_PKT4_PKT5_llS7_PT6_ll16rocsparse_order_21rocsparse_index_base_b,"axG",@progbits,_ZN9rocsparseL29bsrmmnt_small_blockdim_kernelILj64ELj16ELj2Eli21rocsparse_complex_numIfES2_S2_S2_EEv20rocsparse_direction_T3_S4_llNS_24const_host_device_scalarIT7_EEPKT2_PKS4_PKT4_PKT5_llS7_PT6_ll16rocsparse_order_21rocsparse_index_base_b,comdat
	.globl	_ZN9rocsparseL29bsrmmnt_small_blockdim_kernelILj64ELj16ELj2Eli21rocsparse_complex_numIfES2_S2_S2_EEv20rocsparse_direction_T3_S4_llNS_24const_host_device_scalarIT7_EEPKT2_PKS4_PKT4_PKT5_llS7_PT6_ll16rocsparse_order_21rocsparse_index_base_b ; -- Begin function _ZN9rocsparseL29bsrmmnt_small_blockdim_kernelILj64ELj16ELj2Eli21rocsparse_complex_numIfES2_S2_S2_EEv20rocsparse_direction_T3_S4_llNS_24const_host_device_scalarIT7_EEPKT2_PKS4_PKT4_PKT5_llS7_PT6_ll16rocsparse_order_21rocsparse_index_base_b
	.p2align	8
	.type	_ZN9rocsparseL29bsrmmnt_small_blockdim_kernelILj64ELj16ELj2Eli21rocsparse_complex_numIfES2_S2_S2_EEv20rocsparse_direction_T3_S4_llNS_24const_host_device_scalarIT7_EEPKT2_PKS4_PKT4_PKT5_llS7_PT6_ll16rocsparse_order_21rocsparse_index_base_b,@function
_ZN9rocsparseL29bsrmmnt_small_blockdim_kernelILj64ELj16ELj2Eli21rocsparse_complex_numIfES2_S2_S2_EEv20rocsparse_direction_T3_S4_llNS_24const_host_device_scalarIT7_EEPKT2_PKS4_PKT4_PKT5_llS7_PT6_ll16rocsparse_order_21rocsparse_index_base_b: ; @_ZN9rocsparseL29bsrmmnt_small_blockdim_kernelILj64ELj16ELj2Eli21rocsparse_complex_numIfES2_S2_S2_EEv20rocsparse_direction_T3_S4_llNS_24const_host_device_scalarIT7_EEPKT2_PKS4_PKT4_PKT5_llS7_PT6_ll16rocsparse_order_21rocsparse_index_base_b
; %bb.0:
	s_load_dwordx2 s[0:1], s[4:5], 0x20
	s_load_dwordx2 s[2:3], s[4:5], 0x58
	s_load_dwordx4 s[16:19], s[4:5], 0x78
	s_add_u32 s7, s4, 32
	s_addc_u32 s8, s5, 0
	s_add_u32 s9, s4, 0x58
	s_addc_u32 s10, s5, 0
	s_waitcnt lgkmcnt(0)
	s_bitcmp1_b32 s18, 0
	s_cselect_b32 s1, s8, s1
	s_cselect_b32 s0, s7, s0
	v_mov_b32_e32 v1, s0
	v_mov_b32_e32 v2, s1
	flat_load_dwordx2 v[1:2], v[1:2]
	s_cselect_b32 s0, s10, s3
	s_cselect_b32 s1, s9, s2
	v_mov_b32_e32 v3, s1
	v_mov_b32_e32 v4, s0
	flat_load_dwordx2 v[3:4], v[3:4]
	s_waitcnt vmcnt(0) lgkmcnt(0)
	v_cmp_eq_f32_e32 vcc, 0, v1
	v_cmp_eq_f32_e64 s[0:1], 0, v2
	s_and_b64 s[8:9], vcc, s[0:1]
	s_mov_b64 s[0:1], -1
	s_and_saveexec_b64 s[2:3], s[8:9]
; %bb.1:
	v_cmp_neq_f32_e32 vcc, 1.0, v3
	v_cmp_neq_f32_e64 s[0:1], 0, v4
	s_or_b64 s[0:1], vcc, s[0:1]
	s_orn2_b64 s[0:1], s[0:1], exec
; %bb.2:
	s_or_b64 exec, exec, s[2:3]
	s_and_saveexec_b64 s[2:3], s[0:1]
	s_cbranch_execz .LBB50_27
; %bb.3:
	s_load_dword s0, s[4:5], 0x94
	s_load_dwordx4 s[20:23], s[4:5], 0x0
	s_waitcnt lgkmcnt(0)
	s_and_b32 s0, s0, 0xffff
	s_mul_i32 s6, s6, s0
	v_add_u32_e32 v5, s6, v0
	v_lshrrev_b32_e32 v6, 5, v5
	v_cmp_gt_i32_e32 vcc, s21, v6
	s_and_b64 exec, exec, vcc
	s_cbranch_execz .LBB50_27
; %bb.4:
	s_cmp_lt_i32 s22, 1
	s_cbranch_scc1 .LBB50_27
; %bb.5:
	s_load_dwordx8 s[8:15], s[4:5], 0x28
	v_lshlrev_b32_e32 v6, 3, v6
	v_lshrrev_b32_e32 v7, 4, v5
	v_bfe_u32 v8, v5, 4, 1
	v_and_b32_e32 v19, 15, v0
	s_waitcnt lgkmcnt(0)
	global_load_dwordx4 v[9:12], v6, s[8:9]
	s_load_dwordx4 s[24:27], s[4:5], 0x60
	s_load_dwordx2 s[6:7], s[4:5], 0x48
	v_lshrrev_b32_e32 v5, 4, v0
	v_mov_b32_e32 v0, 0x600
	v_cmp_neq_f32_e32 vcc, 0, v3
	v_cmp_neq_f32_e64 s[0:1], 0, v4
	v_lshl_or_b32 v0, v5, 6, v0
	s_or_b64 s[4:5], vcc, s[0:1]
	v_mul_u32_u24_e32 v20, 0x180, v5
	s_waitcnt lgkmcnt(0)
	v_mad_u64_u32 v[5:6], s[2:3], s26, v7, 0
	s_cmp_lg_u32 s16, 1
	s_cselect_b64 s[8:9], -1, 0
	s_cmp_eq_u32 s20, 0
	s_cselect_b64 s[0:1], -1, 0
	v_lshlrev_b32_e32 v14, 3, v7
	v_cndmask_b32_e64 v15, 0, 1, s[0:1]
	s_and_b64 s[0:1], s[0:1], exec
	v_mad_u64_u32 v[6:7], s[0:1], s27, v7, v[6:7]
	v_mov_b32_e32 v17, s25
	v_lshlrev_b32_e32 v8, v15, v8
	v_add_co_u32_e32 v21, vcc, s24, v14
	v_addc_co_u32_e32 v22, vcc, 0, v17, vcc
	v_lshlrev_b32_e32 v8, 3, v8
	v_mov_b32_e32 v15, s13
	v_add_co_u32_e32 v23, vcc, s12, v8
	v_lshlrev_b64 v[5:6], 3, v[5:6]
	v_addc_co_u32_e32 v24, vcc, 0, v15, vcc
	v_mov_b32_e32 v16, s25
	v_add_co_u32_e32 v25, vcc, s24, v5
	v_addc_co_u32_e32 v26, vcc, v16, v6, vcc
	v_mul_u32_u24_e32 v13, 24, v19
	s_mov_b32 s23, 0
	s_cselect_b32 s16, 8, 16
	s_cselect_b32 s24, 12, 20
	v_add_u32_e32 v27, v20, v13
	s_waitcnt vmcnt(0)
	v_subrev_co_u32_e32 v5, vcc, s17, v9
	v_subbrev_co_u32_e32 v6, vcc, 0, v10, vcc
	v_subrev_co_u32_e32 v7, vcc, s17, v11
	v_cmp_lt_i64_e64 s[0:1], v[9:10], v[11:12]
	v_subbrev_co_u32_e32 v8, vcc, 0, v12, vcc
	s_branch .LBB50_7
.LBB50_6:                               ;   in Loop: Header=BB50_7 Depth=1
	s_or_b64 exec, exec, s[2:3]
	s_add_i32 s23, s23, 16
	s_cmp_lt_i32 s23, s22
	s_cbranch_scc0 .LBB50_27
.LBB50_7:                               ; =>This Loop Header: Depth=1
                                        ;     Child Loop BB50_10 Depth 2
                                        ;       Child Loop BB50_14 Depth 3
	v_or_b32_e32 v9, s23, v19
	v_ashrrev_i32_e32 v10, 31, v9
	v_mov_b32_e32 v28, 0
	v_mov_b32_e32 v31, 0
	s_and_saveexec_b64 s[12:13], s[0:1]
	s_cbranch_execz .LBB50_16
; %bb.8:                                ;   in Loop: Header=BB50_7 Depth=1
	v_lshlrev_b64 v[11:12], 3, v[9:10]
	v_mov_b32_e32 v13, s15
	v_add_co_u32_e64 v29, s[2:3], s14, v11
	v_addc_co_u32_e64 v30, s[2:3], v13, v12, s[2:3]
	v_mov_b32_e32 v12, v6
	v_cmp_gt_i32_e32 vcc, s22, v9
	v_mov_b32_e32 v28, 0
	s_mov_b64 s[18:19], 0
	v_mov_b32_e32 v11, v5
	v_mov_b32_e32 v31, 0
	s_branch .LBB50_10
.LBB50_9:                               ;   in Loop: Header=BB50_10 Depth=2
	s_or_b64 exec, exec, s[20:21]
	v_add_co_u32_e64 v11, s[2:3], 16, v11
	v_addc_co_u32_e64 v12, s[2:3], 0, v12, s[2:3]
	v_cmp_ge_i64_e64 s[2:3], v[11:12], v[7:8]
	s_or_b64 s[18:19], s[2:3], s[18:19]
	s_andn2_b64 exec, exec, s[18:19]
	s_cbranch_execz .LBB50_15
.LBB50_10:                              ;   Parent Loop BB50_7 Depth=1
                                        ; =>  This Loop Header: Depth=2
                                        ;       Child Loop BB50_14 Depth 3
	v_add_co_u32_e64 v17, s[2:3], v11, v19
	v_addc_co_u32_e64 v18, s[2:3], 0, v12, s[2:3]
	v_cmp_lt_i64_e64 s[2:3], v[17:18], v[7:8]
	v_mov_b32_e32 v32, 0
	v_mov_b32_e32 v13, 0
	;; [unrolled: 1-line block ×5, first 2 shown]
	s_and_saveexec_b64 s[20:21], s[2:3]
	s_cbranch_execz .LBB50_12
; %bb.11:                               ;   in Loop: Header=BB50_10 Depth=2
	v_lshlrev_b64 v[13:14], 2, v[17:18]
	v_mov_b32_e32 v15, s11
	v_add_co_u32_e64 v13, s[2:3], s10, v13
	v_addc_co_u32_e64 v14, s[2:3], v15, v14, s[2:3]
	global_load_dword v36, v[13:14], off
	v_lshlrev_b64 v[13:14], 5, v[17:18]
	v_add_co_u32_e64 v16, s[2:3], v23, v13
	v_addc_co_u32_e64 v17, s[2:3], v24, v14, s[2:3]
	v_add_co_u32_e64 v32, s[2:3], s16, v16
	v_addc_co_u32_e64 v33, s[2:3], 0, v17, s[2:3]
	;; [unrolled: 2-line block ×3, first 2 shown]
	global_load_dwordx2 v[13:14], v[16:17], off
	global_load_dword v15, v[32:33], off
                                        ; kill: killed $vgpr32 killed $vgpr33
                                        ; kill: killed $vgpr16 killed $vgpr17
	s_nop 0
	global_load_dword v16, v[34:35], off
	s_waitcnt vmcnt(3)
	v_subrev_u32_e32 v17, s17, v36
	v_lshlrev_b32_e32 v32, 1, v17
.LBB50_12:                              ;   in Loop: Header=BB50_10 Depth=2
	s_or_b64 exec, exec, s[20:21]
	v_lshl_or_b32 v17, v19, 2, v0
	ds_write_b32 v17, v32
	s_waitcnt vmcnt(0)
	ds_write2_b64 v27, v[13:14], v[15:16] offset1:1
	s_waitcnt lgkmcnt(0)
	; wave barrier
	s_and_saveexec_b64 s[20:21], vcc
	s_cbranch_execz .LBB50_9
; %bb.13:                               ;   in Loop: Header=BB50_10 Depth=2
	s_mov_b32 s25, 0
	v_mov_b32_e32 v13, v20
.LBB50_14:                              ;   Parent Loop BB50_7 Depth=1
                                        ;     Parent Loop BB50_10 Depth=2
                                        ; =>    This Inner Loop Header: Depth=3
	v_add_u32_e32 v14, s25, v0
	ds_read_b64 v[32:33], v14
	s_add_i32 s25, s25, 8
	s_cmp_lg_u32 s25, 64
	s_waitcnt lgkmcnt(0)
	v_ashrrev_i32_e32 v14, 31, v32
	v_mul_lo_u32 v16, s6, v14
	v_mul_lo_u32 v17, s7, v32
	v_mad_u64_u32 v[14:15], s[2:3], s6, v32, 0
	v_add3_u32 v15, v15, v16, v17
	v_lshlrev_b64 v[14:15], 3, v[14:15]
	v_add_co_u32_e64 v14, s[2:3], v29, v14
	v_addc_co_u32_e64 v15, s[2:3], v30, v15, s[2:3]
	global_load_dwordx2 v[34:35], v[14:15], off
	ds_read_b128 v[14:17], v13
	s_waitcnt vmcnt(0) lgkmcnt(0)
	v_fmac_f32_e32 v28, v15, v34
	v_fmac_f32_e32 v31, v14, v34
	;; [unrolled: 1-line block ×3, first 2 shown]
	v_add_u32_e32 v14, 1, v32
	v_fma_f32 v18, -v15, v35, v31
	v_ashrrev_i32_e32 v15, 31, v14
	v_mul_lo_u32 v31, s6, v15
	v_mul_lo_u32 v32, s7, v14
	v_mad_u64_u32 v[14:15], s[2:3], s6, v14, 0
	v_add3_u32 v15, v15, v31, v32
	v_lshlrev_b64 v[14:15], 3, v[14:15]
	v_add_co_u32_e64 v14, s[2:3], v29, v14
	v_addc_co_u32_e64 v15, s[2:3], v30, v15, s[2:3]
	global_load_dwordx2 v[14:15], v[14:15], off
	s_waitcnt vmcnt(0)
	v_fmac_f32_e32 v18, v16, v14
	v_fmac_f32_e32 v28, v17, v14
	v_ashrrev_i32_e32 v14, 31, v33
	v_fma_f32 v18, -v17, v15, v18
	v_fmac_f32_e32 v28, v16, v15
	v_mul_lo_u32 v16, s6, v14
	v_mul_lo_u32 v17, s7, v33
	v_mad_u64_u32 v[14:15], s[2:3], s6, v33, 0
	v_add3_u32 v15, v15, v16, v17
	v_lshlrev_b64 v[14:15], 3, v[14:15]
	v_add_co_u32_e64 v14, s[2:3], v29, v14
	v_addc_co_u32_e64 v15, s[2:3], v30, v15, s[2:3]
	global_load_dwordx2 v[31:32], v[14:15], off
	ds_read2_b64 v[14:17], v13 offset0:3 offset1:4
	v_add_u32_e32 v13, 48, v13
	s_waitcnt vmcnt(0) lgkmcnt(0)
	v_fmac_f32_e32 v28, v15, v31
	v_fmac_f32_e32 v18, v14, v31
	;; [unrolled: 1-line block ×3, first 2 shown]
	v_add_u32_e32 v14, 1, v33
	v_fma_f32 v18, -v15, v32, v18
	v_ashrrev_i32_e32 v15, 31, v14
	v_mul_lo_u32 v31, s6, v15
	v_mul_lo_u32 v32, s7, v14
	v_mad_u64_u32 v[14:15], s[2:3], s6, v14, 0
	v_add3_u32 v15, v15, v31, v32
	v_lshlrev_b64 v[14:15], 3, v[14:15]
	v_add_co_u32_e64 v14, s[2:3], v29, v14
	v_addc_co_u32_e64 v15, s[2:3], v30, v15, s[2:3]
	global_load_dwordx2 v[14:15], v[14:15], off
	s_waitcnt vmcnt(0)
	v_fmac_f32_e32 v18, v16, v14
	v_fmac_f32_e32 v28, v17, v14
	v_fma_f32 v31, -v17, v15, v18
	v_fmac_f32_e32 v28, v16, v15
	s_cbranch_scc1 .LBB50_14
	s_branch .LBB50_9
.LBB50_15:                              ;   in Loop: Header=BB50_7 Depth=1
	s_or_b64 exec, exec, s[18:19]
.LBB50_16:                              ;   in Loop: Header=BB50_7 Depth=1
	s_or_b64 exec, exec, s[12:13]
	v_cmp_gt_i32_e32 vcc, s22, v9
	s_and_saveexec_b64 s[2:3], vcc
	s_cbranch_execz .LBB50_6
; %bb.17:                               ;   in Loop: Header=BB50_7 Depth=1
	s_and_saveexec_b64 s[12:13], s[4:5]
	s_xor_b64 s[12:13], exec, s[12:13]
	s_cbranch_execz .LBB50_22
; %bb.18:                               ;   in Loop: Header=BB50_7 Depth=1
	s_mov_b64 s[18:19], -1
	s_and_b64 vcc, exec, s[8:9]
	s_cbranch_vccz .LBB50_20
; %bb.19:                               ;   in Loop: Header=BB50_7 Depth=1
	v_lshlrev_b64 v[11:12], 3, v[9:10]
	v_mul_f32_e64 v15, v28, -v2
	v_add_co_u32_e32 v11, vcc, v25, v11
	v_addc_co_u32_e32 v12, vcc, v26, v12, vcc
	global_load_dwordx2 v[13:14], v[11:12], off
	v_mul_f32_e32 v16, v1, v28
	v_fmac_f32_e32 v15, v1, v31
	v_fmac_f32_e32 v16, v2, v31
	s_mov_b64 s[18:19], 0
	s_waitcnt vmcnt(0)
	v_fmac_f32_e32 v15, v3, v13
	v_fmac_f32_e32 v16, v4, v13
	v_fma_f32 v15, -v4, v14, v15
	v_fmac_f32_e32 v16, v3, v14
	global_store_dwordx2 v[11:12], v[15:16], off
.LBB50_20:                              ;   in Loop: Header=BB50_7 Depth=1
	s_andn2_b64 vcc, exec, s[18:19]
	s_cbranch_vccnz .LBB50_22
; %bb.21:                               ;   in Loop: Header=BB50_7 Depth=1
	v_mul_lo_u32 v11, s27, v9
	v_mul_lo_u32 v12, s26, v10
	v_mad_u64_u32 v[9:10], s[18:19], s26, v9, 0
	v_mul_f32_e64 v13, v28, -v2
	v_mul_f32_e32 v14, v1, v28
	v_add3_u32 v10, v10, v12, v11
	v_lshlrev_b64 v[9:10], 3, v[9:10]
	v_fmac_f32_e32 v13, v1, v31
	v_add_co_u32_e32 v9, vcc, v21, v9
	v_addc_co_u32_e32 v10, vcc, v22, v10, vcc
	global_load_dwordx2 v[11:12], v[9:10], off
	v_fmac_f32_e32 v14, v2, v31
                                        ; implicit-def: $vgpr28
                                        ; implicit-def: $vgpr31
	s_waitcnt vmcnt(0)
	v_fmac_f32_e32 v13, v3, v11
	v_fmac_f32_e32 v14, v4, v11
	v_fma_f32 v13, -v4, v12, v13
	v_fmac_f32_e32 v14, v3, v12
	global_store_dwordx2 v[9:10], v[13:14], off
                                        ; implicit-def: $vgpr9
.LBB50_22:                              ;   in Loop: Header=BB50_7 Depth=1
	s_andn2_saveexec_b64 s[12:13], s[12:13]
	s_cbranch_execz .LBB50_6
; %bb.23:                               ;   in Loop: Header=BB50_7 Depth=1
	v_mul_f32_e64 v11, v28, -v2
	v_mul_f32_e32 v12, v1, v28
	v_fmac_f32_e32 v11, v1, v31
	v_fmac_f32_e32 v12, v2, v31
	s_mov_b64 s[12:13], -1
	s_and_b64 vcc, exec, s[8:9]
	s_cbranch_vccz .LBB50_25
; %bb.24:                               ;   in Loop: Header=BB50_7 Depth=1
	v_lshlrev_b64 v[13:14], 3, v[9:10]
	s_mov_b64 s[12:13], 0
	v_add_co_u32_e32 v13, vcc, v25, v13
	v_addc_co_u32_e32 v14, vcc, v26, v14, vcc
	global_store_dwordx2 v[13:14], v[11:12], off
.LBB50_25:                              ;   in Loop: Header=BB50_7 Depth=1
	s_andn2_b64 vcc, exec, s[12:13]
	s_cbranch_vccnz .LBB50_6
; %bb.26:                               ;   in Loop: Header=BB50_7 Depth=1
	v_mul_lo_u32 v13, s27, v9
	v_mul_lo_u32 v14, s26, v10
	v_mad_u64_u32 v[9:10], s[12:13], s26, v9, 0
	v_add3_u32 v10, v10, v14, v13
	v_lshlrev_b64 v[9:10], 3, v[9:10]
	v_add_co_u32_e32 v9, vcc, v21, v9
	v_addc_co_u32_e32 v10, vcc, v22, v10, vcc
	global_store_dwordx2 v[9:10], v[11:12], off
	s_branch .LBB50_6
.LBB50_27:
	s_endpgm
	.section	.rodata,"a",@progbits
	.p2align	6, 0x0
	.amdhsa_kernel _ZN9rocsparseL29bsrmmnt_small_blockdim_kernelILj64ELj16ELj2Eli21rocsparse_complex_numIfES2_S2_S2_EEv20rocsparse_direction_T3_S4_llNS_24const_host_device_scalarIT7_EEPKT2_PKS4_PKT4_PKT5_llS7_PT6_ll16rocsparse_order_21rocsparse_index_base_b
		.amdhsa_group_segment_fixed_size 1792
		.amdhsa_private_segment_fixed_size 0
		.amdhsa_kernarg_size 392
		.amdhsa_user_sgpr_count 6
		.amdhsa_user_sgpr_private_segment_buffer 1
		.amdhsa_user_sgpr_dispatch_ptr 0
		.amdhsa_user_sgpr_queue_ptr 0
		.amdhsa_user_sgpr_kernarg_segment_ptr 1
		.amdhsa_user_sgpr_dispatch_id 0
		.amdhsa_user_sgpr_flat_scratch_init 0
		.amdhsa_user_sgpr_private_segment_size 0
		.amdhsa_uses_dynamic_stack 0
		.amdhsa_system_sgpr_private_segment_wavefront_offset 0
		.amdhsa_system_sgpr_workgroup_id_x 1
		.amdhsa_system_sgpr_workgroup_id_y 0
		.amdhsa_system_sgpr_workgroup_id_z 0
		.amdhsa_system_sgpr_workgroup_info 0
		.amdhsa_system_vgpr_workitem_id 0
		.amdhsa_next_free_vgpr 37
		.amdhsa_next_free_sgpr 61
		.amdhsa_reserve_vcc 1
		.amdhsa_reserve_flat_scratch 0
		.amdhsa_float_round_mode_32 0
		.amdhsa_float_round_mode_16_64 0
		.amdhsa_float_denorm_mode_32 3
		.amdhsa_float_denorm_mode_16_64 3
		.amdhsa_dx10_clamp 1
		.amdhsa_ieee_mode 1
		.amdhsa_fp16_overflow 0
		.amdhsa_exception_fp_ieee_invalid_op 0
		.amdhsa_exception_fp_denorm_src 0
		.amdhsa_exception_fp_ieee_div_zero 0
		.amdhsa_exception_fp_ieee_overflow 0
		.amdhsa_exception_fp_ieee_underflow 0
		.amdhsa_exception_fp_ieee_inexact 0
		.amdhsa_exception_int_div_zero 0
	.end_amdhsa_kernel
	.section	.text._ZN9rocsparseL29bsrmmnt_small_blockdim_kernelILj64ELj16ELj2Eli21rocsparse_complex_numIfES2_S2_S2_EEv20rocsparse_direction_T3_S4_llNS_24const_host_device_scalarIT7_EEPKT2_PKS4_PKT4_PKT5_llS7_PT6_ll16rocsparse_order_21rocsparse_index_base_b,"axG",@progbits,_ZN9rocsparseL29bsrmmnt_small_blockdim_kernelILj64ELj16ELj2Eli21rocsparse_complex_numIfES2_S2_S2_EEv20rocsparse_direction_T3_S4_llNS_24const_host_device_scalarIT7_EEPKT2_PKS4_PKT4_PKT5_llS7_PT6_ll16rocsparse_order_21rocsparse_index_base_b,comdat
.Lfunc_end50:
	.size	_ZN9rocsparseL29bsrmmnt_small_blockdim_kernelILj64ELj16ELj2Eli21rocsparse_complex_numIfES2_S2_S2_EEv20rocsparse_direction_T3_S4_llNS_24const_host_device_scalarIT7_EEPKT2_PKS4_PKT4_PKT5_llS7_PT6_ll16rocsparse_order_21rocsparse_index_base_b, .Lfunc_end50-_ZN9rocsparseL29bsrmmnt_small_blockdim_kernelILj64ELj16ELj2Eli21rocsparse_complex_numIfES2_S2_S2_EEv20rocsparse_direction_T3_S4_llNS_24const_host_device_scalarIT7_EEPKT2_PKS4_PKT4_PKT5_llS7_PT6_ll16rocsparse_order_21rocsparse_index_base_b
                                        ; -- End function
	.set _ZN9rocsparseL29bsrmmnt_small_blockdim_kernelILj64ELj16ELj2Eli21rocsparse_complex_numIfES2_S2_S2_EEv20rocsparse_direction_T3_S4_llNS_24const_host_device_scalarIT7_EEPKT2_PKS4_PKT4_PKT5_llS7_PT6_ll16rocsparse_order_21rocsparse_index_base_b.num_vgpr, 37
	.set _ZN9rocsparseL29bsrmmnt_small_blockdim_kernelILj64ELj16ELj2Eli21rocsparse_complex_numIfES2_S2_S2_EEv20rocsparse_direction_T3_S4_llNS_24const_host_device_scalarIT7_EEPKT2_PKS4_PKT4_PKT5_llS7_PT6_ll16rocsparse_order_21rocsparse_index_base_b.num_agpr, 0
	.set _ZN9rocsparseL29bsrmmnt_small_blockdim_kernelILj64ELj16ELj2Eli21rocsparse_complex_numIfES2_S2_S2_EEv20rocsparse_direction_T3_S4_llNS_24const_host_device_scalarIT7_EEPKT2_PKS4_PKT4_PKT5_llS7_PT6_ll16rocsparse_order_21rocsparse_index_base_b.numbered_sgpr, 28
	.set _ZN9rocsparseL29bsrmmnt_small_blockdim_kernelILj64ELj16ELj2Eli21rocsparse_complex_numIfES2_S2_S2_EEv20rocsparse_direction_T3_S4_llNS_24const_host_device_scalarIT7_EEPKT2_PKS4_PKT4_PKT5_llS7_PT6_ll16rocsparse_order_21rocsparse_index_base_b.num_named_barrier, 0
	.set _ZN9rocsparseL29bsrmmnt_small_blockdim_kernelILj64ELj16ELj2Eli21rocsparse_complex_numIfES2_S2_S2_EEv20rocsparse_direction_T3_S4_llNS_24const_host_device_scalarIT7_EEPKT2_PKS4_PKT4_PKT5_llS7_PT6_ll16rocsparse_order_21rocsparse_index_base_b.private_seg_size, 0
	.set _ZN9rocsparseL29bsrmmnt_small_blockdim_kernelILj64ELj16ELj2Eli21rocsparse_complex_numIfES2_S2_S2_EEv20rocsparse_direction_T3_S4_llNS_24const_host_device_scalarIT7_EEPKT2_PKS4_PKT4_PKT5_llS7_PT6_ll16rocsparse_order_21rocsparse_index_base_b.uses_vcc, 1
	.set _ZN9rocsparseL29bsrmmnt_small_blockdim_kernelILj64ELj16ELj2Eli21rocsparse_complex_numIfES2_S2_S2_EEv20rocsparse_direction_T3_S4_llNS_24const_host_device_scalarIT7_EEPKT2_PKS4_PKT4_PKT5_llS7_PT6_ll16rocsparse_order_21rocsparse_index_base_b.uses_flat_scratch, 0
	.set _ZN9rocsparseL29bsrmmnt_small_blockdim_kernelILj64ELj16ELj2Eli21rocsparse_complex_numIfES2_S2_S2_EEv20rocsparse_direction_T3_S4_llNS_24const_host_device_scalarIT7_EEPKT2_PKS4_PKT4_PKT5_llS7_PT6_ll16rocsparse_order_21rocsparse_index_base_b.has_dyn_sized_stack, 0
	.set _ZN9rocsparseL29bsrmmnt_small_blockdim_kernelILj64ELj16ELj2Eli21rocsparse_complex_numIfES2_S2_S2_EEv20rocsparse_direction_T3_S4_llNS_24const_host_device_scalarIT7_EEPKT2_PKS4_PKT4_PKT5_llS7_PT6_ll16rocsparse_order_21rocsparse_index_base_b.has_recursion, 0
	.set _ZN9rocsparseL29bsrmmnt_small_blockdim_kernelILj64ELj16ELj2Eli21rocsparse_complex_numIfES2_S2_S2_EEv20rocsparse_direction_T3_S4_llNS_24const_host_device_scalarIT7_EEPKT2_PKS4_PKT4_PKT5_llS7_PT6_ll16rocsparse_order_21rocsparse_index_base_b.has_indirect_call, 0
	.section	.AMDGPU.csdata,"",@progbits
; Kernel info:
; codeLenInByte = 1656
; TotalNumSgprs: 32
; NumVgprs: 37
; ScratchSize: 0
; MemoryBound: 0
; FloatMode: 240
; IeeeMode: 1
; LDSByteSize: 1792 bytes/workgroup (compile time only)
; SGPRBlocks: 8
; VGPRBlocks: 9
; NumSGPRsForWavesPerEU: 65
; NumVGPRsForWavesPerEU: 37
; Occupancy: 6
; WaveLimiterHint : 0
; COMPUTE_PGM_RSRC2:SCRATCH_EN: 0
; COMPUTE_PGM_RSRC2:USER_SGPR: 6
; COMPUTE_PGM_RSRC2:TRAP_HANDLER: 0
; COMPUTE_PGM_RSRC2:TGID_X_EN: 1
; COMPUTE_PGM_RSRC2:TGID_Y_EN: 0
; COMPUTE_PGM_RSRC2:TGID_Z_EN: 0
; COMPUTE_PGM_RSRC2:TIDIG_COMP_CNT: 0
	.section	.text._ZN9rocsparseL29bsrmmnt_small_blockdim_kernelILj64ELj32ELj2Eli21rocsparse_complex_numIfES2_S2_S2_EEv20rocsparse_direction_T3_S4_llNS_24const_host_device_scalarIT7_EEPKT2_PKS4_PKT4_PKT5_llS7_PT6_ll16rocsparse_order_21rocsparse_index_base_b,"axG",@progbits,_ZN9rocsparseL29bsrmmnt_small_blockdim_kernelILj64ELj32ELj2Eli21rocsparse_complex_numIfES2_S2_S2_EEv20rocsparse_direction_T3_S4_llNS_24const_host_device_scalarIT7_EEPKT2_PKS4_PKT4_PKT5_llS7_PT6_ll16rocsparse_order_21rocsparse_index_base_b,comdat
	.globl	_ZN9rocsparseL29bsrmmnt_small_blockdim_kernelILj64ELj32ELj2Eli21rocsparse_complex_numIfES2_S2_S2_EEv20rocsparse_direction_T3_S4_llNS_24const_host_device_scalarIT7_EEPKT2_PKS4_PKT4_PKT5_llS7_PT6_ll16rocsparse_order_21rocsparse_index_base_b ; -- Begin function _ZN9rocsparseL29bsrmmnt_small_blockdim_kernelILj64ELj32ELj2Eli21rocsparse_complex_numIfES2_S2_S2_EEv20rocsparse_direction_T3_S4_llNS_24const_host_device_scalarIT7_EEPKT2_PKS4_PKT4_PKT5_llS7_PT6_ll16rocsparse_order_21rocsparse_index_base_b
	.p2align	8
	.type	_ZN9rocsparseL29bsrmmnt_small_blockdim_kernelILj64ELj32ELj2Eli21rocsparse_complex_numIfES2_S2_S2_EEv20rocsparse_direction_T3_S4_llNS_24const_host_device_scalarIT7_EEPKT2_PKS4_PKT4_PKT5_llS7_PT6_ll16rocsparse_order_21rocsparse_index_base_b,@function
_ZN9rocsparseL29bsrmmnt_small_blockdim_kernelILj64ELj32ELj2Eli21rocsparse_complex_numIfES2_S2_S2_EEv20rocsparse_direction_T3_S4_llNS_24const_host_device_scalarIT7_EEPKT2_PKS4_PKT4_PKT5_llS7_PT6_ll16rocsparse_order_21rocsparse_index_base_b: ; @_ZN9rocsparseL29bsrmmnt_small_blockdim_kernelILj64ELj32ELj2Eli21rocsparse_complex_numIfES2_S2_S2_EEv20rocsparse_direction_T3_S4_llNS_24const_host_device_scalarIT7_EEPKT2_PKS4_PKT4_PKT5_llS7_PT6_ll16rocsparse_order_21rocsparse_index_base_b
; %bb.0:
	s_load_dwordx2 s[0:1], s[4:5], 0x20
	s_load_dwordx2 s[2:3], s[4:5], 0x58
	s_load_dwordx4 s[16:19], s[4:5], 0x78
	s_add_u32 s7, s4, 32
	s_addc_u32 s8, s5, 0
	s_add_u32 s9, s4, 0x58
	s_addc_u32 s10, s5, 0
	s_waitcnt lgkmcnt(0)
	s_bitcmp1_b32 s18, 0
	s_cselect_b32 s1, s8, s1
	s_cselect_b32 s0, s7, s0
	v_mov_b32_e32 v1, s0
	v_mov_b32_e32 v2, s1
	flat_load_dwordx2 v[1:2], v[1:2]
	s_cselect_b32 s0, s10, s3
	s_cselect_b32 s1, s9, s2
	v_mov_b32_e32 v3, s1
	v_mov_b32_e32 v4, s0
	flat_load_dwordx2 v[3:4], v[3:4]
	s_waitcnt vmcnt(0) lgkmcnt(0)
	v_cmp_eq_f32_e32 vcc, 0, v1
	v_cmp_eq_f32_e64 s[0:1], 0, v2
	s_and_b64 s[8:9], vcc, s[0:1]
	s_mov_b64 s[0:1], -1
	s_and_saveexec_b64 s[2:3], s[8:9]
; %bb.1:
	v_cmp_neq_f32_e32 vcc, 1.0, v3
	v_cmp_neq_f32_e64 s[0:1], 0, v4
	s_or_b64 s[0:1], vcc, s[0:1]
	s_orn2_b64 s[0:1], s[0:1], exec
; %bb.2:
	s_or_b64 exec, exec, s[2:3]
	s_and_saveexec_b64 s[2:3], s[0:1]
	s_cbranch_execz .LBB51_27
; %bb.3:
	s_load_dword s0, s[4:5], 0x94
	s_load_dwordx4 s[20:23], s[4:5], 0x0
	s_waitcnt lgkmcnt(0)
	s_and_b32 s0, s0, 0xffff
	s_mul_i32 s6, s6, s0
	v_add_u32_e32 v5, s6, v0
	v_lshrrev_b32_e32 v6, 6, v5
	v_cmp_gt_i32_e32 vcc, s21, v6
	s_and_b64 exec, exec, vcc
	s_cbranch_execz .LBB51_27
; %bb.4:
	s_cmp_lt_i32 s22, 1
	s_cbranch_scc1 .LBB51_27
; %bb.5:
	s_load_dwordx8 s[8:15], s[4:5], 0x28
	v_lshlrev_b32_e32 v6, 3, v6
	v_lshrrev_b32_e32 v7, 5, v5
	v_bfe_u32 v8, v5, 5, 1
	v_and_b32_e32 v19, 31, v0
	s_waitcnt lgkmcnt(0)
	global_load_dwordx4 v[9:12], v6, s[8:9]
	s_load_dwordx4 s[24:27], s[4:5], 0x60
	s_load_dwordx2 s[6:7], s[4:5], 0x48
	v_lshrrev_b32_e32 v5, 5, v0
	v_mov_b32_e32 v0, 0x600
	v_cmp_neq_f32_e32 vcc, 0, v3
	v_cmp_neq_f32_e64 s[0:1], 0, v4
	v_lshl_or_b32 v0, v5, 7, v0
	s_or_b64 s[4:5], vcc, s[0:1]
	v_mul_u32_u24_e32 v20, 0x300, v5
	s_waitcnt lgkmcnt(0)
	v_mad_u64_u32 v[5:6], s[2:3], s26, v7, 0
	s_cmp_lg_u32 s16, 1
	s_cselect_b64 s[8:9], -1, 0
	s_cmp_eq_u32 s20, 0
	s_cselect_b64 s[0:1], -1, 0
	v_lshlrev_b32_e32 v14, 3, v7
	v_cndmask_b32_e64 v15, 0, 1, s[0:1]
	s_and_b64 s[0:1], s[0:1], exec
	v_mad_u64_u32 v[6:7], s[0:1], s27, v7, v[6:7]
	v_mov_b32_e32 v17, s25
	v_lshlrev_b32_e32 v8, v15, v8
	v_add_co_u32_e32 v21, vcc, s24, v14
	v_addc_co_u32_e32 v22, vcc, 0, v17, vcc
	v_lshlrev_b32_e32 v8, 3, v8
	v_mov_b32_e32 v15, s13
	v_add_co_u32_e32 v23, vcc, s12, v8
	v_lshlrev_b64 v[5:6], 3, v[5:6]
	v_addc_co_u32_e32 v24, vcc, 0, v15, vcc
	v_mov_b32_e32 v16, s25
	v_add_co_u32_e32 v25, vcc, s24, v5
	v_addc_co_u32_e32 v26, vcc, v16, v6, vcc
	v_mul_u32_u24_e32 v13, 24, v19
	s_mov_b32 s23, 0
	s_cselect_b32 s16, 8, 16
	s_cselect_b32 s24, 12, 20
	v_add_u32_e32 v27, v20, v13
	s_waitcnt vmcnt(0)
	v_subrev_co_u32_e32 v5, vcc, s17, v9
	v_subbrev_co_u32_e32 v6, vcc, 0, v10, vcc
	v_subrev_co_u32_e32 v7, vcc, s17, v11
	v_cmp_lt_i64_e64 s[0:1], v[9:10], v[11:12]
	v_subbrev_co_u32_e32 v8, vcc, 0, v12, vcc
	s_branch .LBB51_7
.LBB51_6:                               ;   in Loop: Header=BB51_7 Depth=1
	s_or_b64 exec, exec, s[2:3]
	s_add_i32 s23, s23, 32
	s_cmp_lt_i32 s23, s22
	s_cbranch_scc0 .LBB51_27
.LBB51_7:                               ; =>This Loop Header: Depth=1
                                        ;     Child Loop BB51_10 Depth 2
                                        ;       Child Loop BB51_14 Depth 3
	v_or_b32_e32 v9, s23, v19
	v_ashrrev_i32_e32 v10, 31, v9
	v_mov_b32_e32 v28, 0
	v_mov_b32_e32 v31, 0
	s_and_saveexec_b64 s[12:13], s[0:1]
	s_cbranch_execz .LBB51_16
; %bb.8:                                ;   in Loop: Header=BB51_7 Depth=1
	v_lshlrev_b64 v[11:12], 3, v[9:10]
	v_mov_b32_e32 v13, s15
	v_add_co_u32_e64 v29, s[2:3], s14, v11
	v_addc_co_u32_e64 v30, s[2:3], v13, v12, s[2:3]
	v_mov_b32_e32 v12, v6
	v_cmp_gt_i32_e32 vcc, s22, v9
	v_mov_b32_e32 v28, 0
	s_mov_b64 s[18:19], 0
	v_mov_b32_e32 v11, v5
	v_mov_b32_e32 v31, 0
	s_branch .LBB51_10
.LBB51_9:                               ;   in Loop: Header=BB51_10 Depth=2
	s_or_b64 exec, exec, s[20:21]
	v_add_co_u32_e64 v11, s[2:3], 32, v11
	v_addc_co_u32_e64 v12, s[2:3], 0, v12, s[2:3]
	v_cmp_ge_i64_e64 s[2:3], v[11:12], v[7:8]
	s_or_b64 s[18:19], s[2:3], s[18:19]
	s_andn2_b64 exec, exec, s[18:19]
	s_cbranch_execz .LBB51_15
.LBB51_10:                              ;   Parent Loop BB51_7 Depth=1
                                        ; =>  This Loop Header: Depth=2
                                        ;       Child Loop BB51_14 Depth 3
	v_add_co_u32_e64 v17, s[2:3], v11, v19
	v_addc_co_u32_e64 v18, s[2:3], 0, v12, s[2:3]
	v_cmp_lt_i64_e64 s[2:3], v[17:18], v[7:8]
	v_mov_b32_e32 v32, 0
	v_mov_b32_e32 v13, 0
	;; [unrolled: 1-line block ×5, first 2 shown]
	s_and_saveexec_b64 s[20:21], s[2:3]
	s_cbranch_execz .LBB51_12
; %bb.11:                               ;   in Loop: Header=BB51_10 Depth=2
	v_lshlrev_b64 v[13:14], 2, v[17:18]
	v_mov_b32_e32 v15, s11
	v_add_co_u32_e64 v13, s[2:3], s10, v13
	v_addc_co_u32_e64 v14, s[2:3], v15, v14, s[2:3]
	global_load_dword v36, v[13:14], off
	v_lshlrev_b64 v[13:14], 5, v[17:18]
	v_add_co_u32_e64 v16, s[2:3], v23, v13
	v_addc_co_u32_e64 v17, s[2:3], v24, v14, s[2:3]
	v_add_co_u32_e64 v32, s[2:3], s16, v16
	v_addc_co_u32_e64 v33, s[2:3], 0, v17, s[2:3]
	;; [unrolled: 2-line block ×3, first 2 shown]
	global_load_dwordx2 v[13:14], v[16:17], off
	global_load_dword v15, v[32:33], off
                                        ; kill: killed $vgpr32 killed $vgpr33
                                        ; kill: killed $vgpr16 killed $vgpr17
	s_nop 0
	global_load_dword v16, v[34:35], off
	s_waitcnt vmcnt(3)
	v_subrev_u32_e32 v17, s17, v36
	v_lshlrev_b32_e32 v32, 1, v17
.LBB51_12:                              ;   in Loop: Header=BB51_10 Depth=2
	s_or_b64 exec, exec, s[20:21]
	v_lshl_or_b32 v17, v19, 2, v0
	ds_write_b32 v17, v32
	s_waitcnt vmcnt(0)
	ds_write2_b64 v27, v[13:14], v[15:16] offset1:1
	s_waitcnt lgkmcnt(0)
	; wave barrier
	s_and_saveexec_b64 s[20:21], vcc
	s_cbranch_execz .LBB51_9
; %bb.13:                               ;   in Loop: Header=BB51_10 Depth=2
	s_mov_b32 s25, 0
	v_mov_b32_e32 v13, v20
.LBB51_14:                              ;   Parent Loop BB51_7 Depth=1
                                        ;     Parent Loop BB51_10 Depth=2
                                        ; =>    This Inner Loop Header: Depth=3
	v_add_u32_e32 v14, s25, v0
	ds_read_b64 v[32:33], v14
	s_add_i32 s25, s25, 8
	s_cmpk_lg_i32 s25, 0x80
	s_waitcnt lgkmcnt(0)
	v_ashrrev_i32_e32 v14, 31, v32
	v_mul_lo_u32 v16, s6, v14
	v_mul_lo_u32 v17, s7, v32
	v_mad_u64_u32 v[14:15], s[2:3], s6, v32, 0
	v_add3_u32 v15, v15, v16, v17
	v_lshlrev_b64 v[14:15], 3, v[14:15]
	v_add_co_u32_e64 v14, s[2:3], v29, v14
	v_addc_co_u32_e64 v15, s[2:3], v30, v15, s[2:3]
	global_load_dwordx2 v[34:35], v[14:15], off
	ds_read_b128 v[14:17], v13
	s_waitcnt vmcnt(0) lgkmcnt(0)
	v_fmac_f32_e32 v28, v15, v34
	v_fmac_f32_e32 v31, v14, v34
	;; [unrolled: 1-line block ×3, first 2 shown]
	v_add_u32_e32 v14, 1, v32
	v_fma_f32 v18, -v15, v35, v31
	v_ashrrev_i32_e32 v15, 31, v14
	v_mul_lo_u32 v31, s6, v15
	v_mul_lo_u32 v32, s7, v14
	v_mad_u64_u32 v[14:15], s[2:3], s6, v14, 0
	v_add3_u32 v15, v15, v31, v32
	v_lshlrev_b64 v[14:15], 3, v[14:15]
	v_add_co_u32_e64 v14, s[2:3], v29, v14
	v_addc_co_u32_e64 v15, s[2:3], v30, v15, s[2:3]
	global_load_dwordx2 v[14:15], v[14:15], off
	s_waitcnt vmcnt(0)
	v_fmac_f32_e32 v18, v16, v14
	v_fmac_f32_e32 v28, v17, v14
	v_ashrrev_i32_e32 v14, 31, v33
	v_fma_f32 v18, -v17, v15, v18
	v_fmac_f32_e32 v28, v16, v15
	v_mul_lo_u32 v16, s6, v14
	v_mul_lo_u32 v17, s7, v33
	v_mad_u64_u32 v[14:15], s[2:3], s6, v33, 0
	v_add3_u32 v15, v15, v16, v17
	v_lshlrev_b64 v[14:15], 3, v[14:15]
	v_add_co_u32_e64 v14, s[2:3], v29, v14
	v_addc_co_u32_e64 v15, s[2:3], v30, v15, s[2:3]
	global_load_dwordx2 v[31:32], v[14:15], off
	ds_read2_b64 v[14:17], v13 offset0:3 offset1:4
	v_add_u32_e32 v13, 48, v13
	s_waitcnt vmcnt(0) lgkmcnt(0)
	v_fmac_f32_e32 v28, v15, v31
	v_fmac_f32_e32 v18, v14, v31
	;; [unrolled: 1-line block ×3, first 2 shown]
	v_add_u32_e32 v14, 1, v33
	v_fma_f32 v18, -v15, v32, v18
	v_ashrrev_i32_e32 v15, 31, v14
	v_mul_lo_u32 v31, s6, v15
	v_mul_lo_u32 v32, s7, v14
	v_mad_u64_u32 v[14:15], s[2:3], s6, v14, 0
	v_add3_u32 v15, v15, v31, v32
	v_lshlrev_b64 v[14:15], 3, v[14:15]
	v_add_co_u32_e64 v14, s[2:3], v29, v14
	v_addc_co_u32_e64 v15, s[2:3], v30, v15, s[2:3]
	global_load_dwordx2 v[14:15], v[14:15], off
	s_waitcnt vmcnt(0)
	v_fmac_f32_e32 v18, v16, v14
	v_fmac_f32_e32 v28, v17, v14
	v_fma_f32 v31, -v17, v15, v18
	v_fmac_f32_e32 v28, v16, v15
	s_cbranch_scc1 .LBB51_14
	s_branch .LBB51_9
.LBB51_15:                              ;   in Loop: Header=BB51_7 Depth=1
	s_or_b64 exec, exec, s[18:19]
.LBB51_16:                              ;   in Loop: Header=BB51_7 Depth=1
	s_or_b64 exec, exec, s[12:13]
	v_cmp_gt_i32_e32 vcc, s22, v9
	s_and_saveexec_b64 s[2:3], vcc
	s_cbranch_execz .LBB51_6
; %bb.17:                               ;   in Loop: Header=BB51_7 Depth=1
	s_and_saveexec_b64 s[12:13], s[4:5]
	s_xor_b64 s[12:13], exec, s[12:13]
	s_cbranch_execz .LBB51_22
; %bb.18:                               ;   in Loop: Header=BB51_7 Depth=1
	s_mov_b64 s[18:19], -1
	s_and_b64 vcc, exec, s[8:9]
	s_cbranch_vccz .LBB51_20
; %bb.19:                               ;   in Loop: Header=BB51_7 Depth=1
	v_lshlrev_b64 v[11:12], 3, v[9:10]
	v_mul_f32_e64 v15, v28, -v2
	v_add_co_u32_e32 v11, vcc, v25, v11
	v_addc_co_u32_e32 v12, vcc, v26, v12, vcc
	global_load_dwordx2 v[13:14], v[11:12], off
	v_mul_f32_e32 v16, v1, v28
	v_fmac_f32_e32 v15, v1, v31
	v_fmac_f32_e32 v16, v2, v31
	s_mov_b64 s[18:19], 0
	s_waitcnt vmcnt(0)
	v_fmac_f32_e32 v15, v3, v13
	v_fmac_f32_e32 v16, v4, v13
	v_fma_f32 v15, -v4, v14, v15
	v_fmac_f32_e32 v16, v3, v14
	global_store_dwordx2 v[11:12], v[15:16], off
.LBB51_20:                              ;   in Loop: Header=BB51_7 Depth=1
	s_andn2_b64 vcc, exec, s[18:19]
	s_cbranch_vccnz .LBB51_22
; %bb.21:                               ;   in Loop: Header=BB51_7 Depth=1
	v_mul_lo_u32 v11, s27, v9
	v_mul_lo_u32 v12, s26, v10
	v_mad_u64_u32 v[9:10], s[18:19], s26, v9, 0
	v_mul_f32_e64 v13, v28, -v2
	v_mul_f32_e32 v14, v1, v28
	v_add3_u32 v10, v10, v12, v11
	v_lshlrev_b64 v[9:10], 3, v[9:10]
	v_fmac_f32_e32 v13, v1, v31
	v_add_co_u32_e32 v9, vcc, v21, v9
	v_addc_co_u32_e32 v10, vcc, v22, v10, vcc
	global_load_dwordx2 v[11:12], v[9:10], off
	v_fmac_f32_e32 v14, v2, v31
                                        ; implicit-def: $vgpr28
                                        ; implicit-def: $vgpr31
	s_waitcnt vmcnt(0)
	v_fmac_f32_e32 v13, v3, v11
	v_fmac_f32_e32 v14, v4, v11
	v_fma_f32 v13, -v4, v12, v13
	v_fmac_f32_e32 v14, v3, v12
	global_store_dwordx2 v[9:10], v[13:14], off
                                        ; implicit-def: $vgpr9
.LBB51_22:                              ;   in Loop: Header=BB51_7 Depth=1
	s_andn2_saveexec_b64 s[12:13], s[12:13]
	s_cbranch_execz .LBB51_6
; %bb.23:                               ;   in Loop: Header=BB51_7 Depth=1
	v_mul_f32_e64 v11, v28, -v2
	v_mul_f32_e32 v12, v1, v28
	v_fmac_f32_e32 v11, v1, v31
	v_fmac_f32_e32 v12, v2, v31
	s_mov_b64 s[12:13], -1
	s_and_b64 vcc, exec, s[8:9]
	s_cbranch_vccz .LBB51_25
; %bb.24:                               ;   in Loop: Header=BB51_7 Depth=1
	v_lshlrev_b64 v[13:14], 3, v[9:10]
	s_mov_b64 s[12:13], 0
	v_add_co_u32_e32 v13, vcc, v25, v13
	v_addc_co_u32_e32 v14, vcc, v26, v14, vcc
	global_store_dwordx2 v[13:14], v[11:12], off
.LBB51_25:                              ;   in Loop: Header=BB51_7 Depth=1
	s_andn2_b64 vcc, exec, s[12:13]
	s_cbranch_vccnz .LBB51_6
; %bb.26:                               ;   in Loop: Header=BB51_7 Depth=1
	v_mul_lo_u32 v13, s27, v9
	v_mul_lo_u32 v14, s26, v10
	v_mad_u64_u32 v[9:10], s[12:13], s26, v9, 0
	v_add3_u32 v10, v10, v14, v13
	v_lshlrev_b64 v[9:10], 3, v[9:10]
	v_add_co_u32_e32 v9, vcc, v21, v9
	v_addc_co_u32_e32 v10, vcc, v22, v10, vcc
	global_store_dwordx2 v[9:10], v[11:12], off
	s_branch .LBB51_6
.LBB51_27:
	s_endpgm
	.section	.rodata,"a",@progbits
	.p2align	6, 0x0
	.amdhsa_kernel _ZN9rocsparseL29bsrmmnt_small_blockdim_kernelILj64ELj32ELj2Eli21rocsparse_complex_numIfES2_S2_S2_EEv20rocsparse_direction_T3_S4_llNS_24const_host_device_scalarIT7_EEPKT2_PKS4_PKT4_PKT5_llS7_PT6_ll16rocsparse_order_21rocsparse_index_base_b
		.amdhsa_group_segment_fixed_size 1792
		.amdhsa_private_segment_fixed_size 0
		.amdhsa_kernarg_size 392
		.amdhsa_user_sgpr_count 6
		.amdhsa_user_sgpr_private_segment_buffer 1
		.amdhsa_user_sgpr_dispatch_ptr 0
		.amdhsa_user_sgpr_queue_ptr 0
		.amdhsa_user_sgpr_kernarg_segment_ptr 1
		.amdhsa_user_sgpr_dispatch_id 0
		.amdhsa_user_sgpr_flat_scratch_init 0
		.amdhsa_user_sgpr_private_segment_size 0
		.amdhsa_uses_dynamic_stack 0
		.amdhsa_system_sgpr_private_segment_wavefront_offset 0
		.amdhsa_system_sgpr_workgroup_id_x 1
		.amdhsa_system_sgpr_workgroup_id_y 0
		.amdhsa_system_sgpr_workgroup_id_z 0
		.amdhsa_system_sgpr_workgroup_info 0
		.amdhsa_system_vgpr_workitem_id 0
		.amdhsa_next_free_vgpr 37
		.amdhsa_next_free_sgpr 61
		.amdhsa_reserve_vcc 1
		.amdhsa_reserve_flat_scratch 0
		.amdhsa_float_round_mode_32 0
		.amdhsa_float_round_mode_16_64 0
		.amdhsa_float_denorm_mode_32 3
		.amdhsa_float_denorm_mode_16_64 3
		.amdhsa_dx10_clamp 1
		.amdhsa_ieee_mode 1
		.amdhsa_fp16_overflow 0
		.amdhsa_exception_fp_ieee_invalid_op 0
		.amdhsa_exception_fp_denorm_src 0
		.amdhsa_exception_fp_ieee_div_zero 0
		.amdhsa_exception_fp_ieee_overflow 0
		.amdhsa_exception_fp_ieee_underflow 0
		.amdhsa_exception_fp_ieee_inexact 0
		.amdhsa_exception_int_div_zero 0
	.end_amdhsa_kernel
	.section	.text._ZN9rocsparseL29bsrmmnt_small_blockdim_kernelILj64ELj32ELj2Eli21rocsparse_complex_numIfES2_S2_S2_EEv20rocsparse_direction_T3_S4_llNS_24const_host_device_scalarIT7_EEPKT2_PKS4_PKT4_PKT5_llS7_PT6_ll16rocsparse_order_21rocsparse_index_base_b,"axG",@progbits,_ZN9rocsparseL29bsrmmnt_small_blockdim_kernelILj64ELj32ELj2Eli21rocsparse_complex_numIfES2_S2_S2_EEv20rocsparse_direction_T3_S4_llNS_24const_host_device_scalarIT7_EEPKT2_PKS4_PKT4_PKT5_llS7_PT6_ll16rocsparse_order_21rocsparse_index_base_b,comdat
.Lfunc_end51:
	.size	_ZN9rocsparseL29bsrmmnt_small_blockdim_kernelILj64ELj32ELj2Eli21rocsparse_complex_numIfES2_S2_S2_EEv20rocsparse_direction_T3_S4_llNS_24const_host_device_scalarIT7_EEPKT2_PKS4_PKT4_PKT5_llS7_PT6_ll16rocsparse_order_21rocsparse_index_base_b, .Lfunc_end51-_ZN9rocsparseL29bsrmmnt_small_blockdim_kernelILj64ELj32ELj2Eli21rocsparse_complex_numIfES2_S2_S2_EEv20rocsparse_direction_T3_S4_llNS_24const_host_device_scalarIT7_EEPKT2_PKS4_PKT4_PKT5_llS7_PT6_ll16rocsparse_order_21rocsparse_index_base_b
                                        ; -- End function
	.set _ZN9rocsparseL29bsrmmnt_small_blockdim_kernelILj64ELj32ELj2Eli21rocsparse_complex_numIfES2_S2_S2_EEv20rocsparse_direction_T3_S4_llNS_24const_host_device_scalarIT7_EEPKT2_PKS4_PKT4_PKT5_llS7_PT6_ll16rocsparse_order_21rocsparse_index_base_b.num_vgpr, 37
	.set _ZN9rocsparseL29bsrmmnt_small_blockdim_kernelILj64ELj32ELj2Eli21rocsparse_complex_numIfES2_S2_S2_EEv20rocsparse_direction_T3_S4_llNS_24const_host_device_scalarIT7_EEPKT2_PKS4_PKT4_PKT5_llS7_PT6_ll16rocsparse_order_21rocsparse_index_base_b.num_agpr, 0
	.set _ZN9rocsparseL29bsrmmnt_small_blockdim_kernelILj64ELj32ELj2Eli21rocsparse_complex_numIfES2_S2_S2_EEv20rocsparse_direction_T3_S4_llNS_24const_host_device_scalarIT7_EEPKT2_PKS4_PKT4_PKT5_llS7_PT6_ll16rocsparse_order_21rocsparse_index_base_b.numbered_sgpr, 28
	.set _ZN9rocsparseL29bsrmmnt_small_blockdim_kernelILj64ELj32ELj2Eli21rocsparse_complex_numIfES2_S2_S2_EEv20rocsparse_direction_T3_S4_llNS_24const_host_device_scalarIT7_EEPKT2_PKS4_PKT4_PKT5_llS7_PT6_ll16rocsparse_order_21rocsparse_index_base_b.num_named_barrier, 0
	.set _ZN9rocsparseL29bsrmmnt_small_blockdim_kernelILj64ELj32ELj2Eli21rocsparse_complex_numIfES2_S2_S2_EEv20rocsparse_direction_T3_S4_llNS_24const_host_device_scalarIT7_EEPKT2_PKS4_PKT4_PKT5_llS7_PT6_ll16rocsparse_order_21rocsparse_index_base_b.private_seg_size, 0
	.set _ZN9rocsparseL29bsrmmnt_small_blockdim_kernelILj64ELj32ELj2Eli21rocsparse_complex_numIfES2_S2_S2_EEv20rocsparse_direction_T3_S4_llNS_24const_host_device_scalarIT7_EEPKT2_PKS4_PKT4_PKT5_llS7_PT6_ll16rocsparse_order_21rocsparse_index_base_b.uses_vcc, 1
	.set _ZN9rocsparseL29bsrmmnt_small_blockdim_kernelILj64ELj32ELj2Eli21rocsparse_complex_numIfES2_S2_S2_EEv20rocsparse_direction_T3_S4_llNS_24const_host_device_scalarIT7_EEPKT2_PKS4_PKT4_PKT5_llS7_PT6_ll16rocsparse_order_21rocsparse_index_base_b.uses_flat_scratch, 0
	.set _ZN9rocsparseL29bsrmmnt_small_blockdim_kernelILj64ELj32ELj2Eli21rocsparse_complex_numIfES2_S2_S2_EEv20rocsparse_direction_T3_S4_llNS_24const_host_device_scalarIT7_EEPKT2_PKS4_PKT4_PKT5_llS7_PT6_ll16rocsparse_order_21rocsparse_index_base_b.has_dyn_sized_stack, 0
	.set _ZN9rocsparseL29bsrmmnt_small_blockdim_kernelILj64ELj32ELj2Eli21rocsparse_complex_numIfES2_S2_S2_EEv20rocsparse_direction_T3_S4_llNS_24const_host_device_scalarIT7_EEPKT2_PKS4_PKT4_PKT5_llS7_PT6_ll16rocsparse_order_21rocsparse_index_base_b.has_recursion, 0
	.set _ZN9rocsparseL29bsrmmnt_small_blockdim_kernelILj64ELj32ELj2Eli21rocsparse_complex_numIfES2_S2_S2_EEv20rocsparse_direction_T3_S4_llNS_24const_host_device_scalarIT7_EEPKT2_PKS4_PKT4_PKT5_llS7_PT6_ll16rocsparse_order_21rocsparse_index_base_b.has_indirect_call, 0
	.section	.AMDGPU.csdata,"",@progbits
; Kernel info:
; codeLenInByte = 1656
; TotalNumSgprs: 32
; NumVgprs: 37
; ScratchSize: 0
; MemoryBound: 0
; FloatMode: 240
; IeeeMode: 1
; LDSByteSize: 1792 bytes/workgroup (compile time only)
; SGPRBlocks: 8
; VGPRBlocks: 9
; NumSGPRsForWavesPerEU: 65
; NumVGPRsForWavesPerEU: 37
; Occupancy: 6
; WaveLimiterHint : 0
; COMPUTE_PGM_RSRC2:SCRATCH_EN: 0
; COMPUTE_PGM_RSRC2:USER_SGPR: 6
; COMPUTE_PGM_RSRC2:TRAP_HANDLER: 0
; COMPUTE_PGM_RSRC2:TGID_X_EN: 1
; COMPUTE_PGM_RSRC2:TGID_Y_EN: 0
; COMPUTE_PGM_RSRC2:TGID_Z_EN: 0
; COMPUTE_PGM_RSRC2:TIDIG_COMP_CNT: 0
	.section	.text._ZN9rocsparseL29bsrmmnt_small_blockdim_kernelILj64ELj64ELj2Eli21rocsparse_complex_numIfES2_S2_S2_EEv20rocsparse_direction_T3_S4_llNS_24const_host_device_scalarIT7_EEPKT2_PKS4_PKT4_PKT5_llS7_PT6_ll16rocsparse_order_21rocsparse_index_base_b,"axG",@progbits,_ZN9rocsparseL29bsrmmnt_small_blockdim_kernelILj64ELj64ELj2Eli21rocsparse_complex_numIfES2_S2_S2_EEv20rocsparse_direction_T3_S4_llNS_24const_host_device_scalarIT7_EEPKT2_PKS4_PKT4_PKT5_llS7_PT6_ll16rocsparse_order_21rocsparse_index_base_b,comdat
	.globl	_ZN9rocsparseL29bsrmmnt_small_blockdim_kernelILj64ELj64ELj2Eli21rocsparse_complex_numIfES2_S2_S2_EEv20rocsparse_direction_T3_S4_llNS_24const_host_device_scalarIT7_EEPKT2_PKS4_PKT4_PKT5_llS7_PT6_ll16rocsparse_order_21rocsparse_index_base_b ; -- Begin function _ZN9rocsparseL29bsrmmnt_small_blockdim_kernelILj64ELj64ELj2Eli21rocsparse_complex_numIfES2_S2_S2_EEv20rocsparse_direction_T3_S4_llNS_24const_host_device_scalarIT7_EEPKT2_PKS4_PKT4_PKT5_llS7_PT6_ll16rocsparse_order_21rocsparse_index_base_b
	.p2align	8
	.type	_ZN9rocsparseL29bsrmmnt_small_blockdim_kernelILj64ELj64ELj2Eli21rocsparse_complex_numIfES2_S2_S2_EEv20rocsparse_direction_T3_S4_llNS_24const_host_device_scalarIT7_EEPKT2_PKS4_PKT4_PKT5_llS7_PT6_ll16rocsparse_order_21rocsparse_index_base_b,@function
_ZN9rocsparseL29bsrmmnt_small_blockdim_kernelILj64ELj64ELj2Eli21rocsparse_complex_numIfES2_S2_S2_EEv20rocsparse_direction_T3_S4_llNS_24const_host_device_scalarIT7_EEPKT2_PKS4_PKT4_PKT5_llS7_PT6_ll16rocsparse_order_21rocsparse_index_base_b: ; @_ZN9rocsparseL29bsrmmnt_small_blockdim_kernelILj64ELj64ELj2Eli21rocsparse_complex_numIfES2_S2_S2_EEv20rocsparse_direction_T3_S4_llNS_24const_host_device_scalarIT7_EEPKT2_PKS4_PKT4_PKT5_llS7_PT6_ll16rocsparse_order_21rocsparse_index_base_b
; %bb.0:
	s_load_dwordx2 s[0:1], s[4:5], 0x20
	s_load_dwordx2 s[2:3], s[4:5], 0x58
	s_load_dwordx4 s[16:19], s[4:5], 0x78
	s_add_u32 s7, s4, 32
	s_addc_u32 s8, s5, 0
	s_add_u32 s9, s4, 0x58
	s_addc_u32 s10, s5, 0
	s_waitcnt lgkmcnt(0)
	s_bitcmp1_b32 s18, 0
	s_cselect_b32 s1, s8, s1
	s_cselect_b32 s0, s7, s0
	v_mov_b32_e32 v1, s0
	v_mov_b32_e32 v2, s1
	flat_load_dwordx2 v[1:2], v[1:2]
	s_cselect_b32 s0, s10, s3
	s_cselect_b32 s1, s9, s2
	v_mov_b32_e32 v3, s1
	v_mov_b32_e32 v4, s0
	flat_load_dwordx2 v[3:4], v[3:4]
	s_waitcnt vmcnt(0) lgkmcnt(0)
	v_cmp_eq_f32_e32 vcc, 0, v1
	v_cmp_eq_f32_e64 s[0:1], 0, v2
	s_and_b64 s[8:9], vcc, s[0:1]
	s_mov_b64 s[0:1], -1
	s_and_saveexec_b64 s[2:3], s[8:9]
; %bb.1:
	v_cmp_neq_f32_e32 vcc, 1.0, v3
	v_cmp_neq_f32_e64 s[0:1], 0, v4
	s_or_b64 s[0:1], vcc, s[0:1]
	s_orn2_b64 s[0:1], s[0:1], exec
; %bb.2:
	s_or_b64 exec, exec, s[2:3]
	s_and_saveexec_b64 s[2:3], s[0:1]
	s_cbranch_execz .LBB52_27
; %bb.3:
	s_load_dword s0, s[4:5], 0x94
	s_load_dwordx4 s[20:23], s[4:5], 0x0
	s_waitcnt lgkmcnt(0)
	s_and_b32 s0, s0, 0xffff
	s_mul_i32 s6, s6, s0
	v_add_u32_e32 v5, s6, v0
	v_lshrrev_b32_e32 v6, 7, v5
	v_cmp_gt_i32_e32 vcc, s21, v6
	s_and_b64 exec, exec, vcc
	s_cbranch_execz .LBB52_27
; %bb.4:
	s_cmp_lt_i32 s22, 1
	s_cbranch_scc1 .LBB52_27
; %bb.5:
	s_load_dwordx8 s[8:15], s[4:5], 0x28
	v_lshlrev_b32_e32 v6, 3, v6
	v_lshrrev_b32_e32 v7, 6, v5
	v_cmp_neq_f32_e32 vcc, 0, v3
	v_cmp_neq_f32_e64 s[0:1], 0, v4
	s_waitcnt lgkmcnt(0)
	global_load_dwordx4 v[9:12], v6, s[8:9]
	s_load_dwordx4 s[24:27], s[4:5], 0x60
	s_load_dwordx2 s[6:7], s[4:5], 0x48
	v_bfe_u32 v8, v5, 6, 1
	s_or_b64 s[4:5], vcc, s[0:1]
	s_cmp_lg_u32 s16, 1
	s_waitcnt lgkmcnt(0)
	v_mad_u64_u32 v[5:6], s[2:3], s26, v7, 0
	s_cselect_b64 s[8:9], -1, 0
	s_cmp_eq_u32 s20, 0
	s_cselect_b64 s[0:1], -1, 0
	v_lshlrev_b32_e32 v13, 3, v7
	v_cndmask_b32_e64 v14, 0, 1, s[0:1]
	s_and_b64 s[0:1], s[0:1], exec
	v_mad_u64_u32 v[6:7], s[0:1], s27, v7, v[6:7]
	v_mov_b32_e32 v16, s25
	v_lshlrev_b32_e32 v8, v14, v8
	v_add_co_u32_e32 v22, vcc, s24, v13
	v_addc_co_u32_e32 v23, vcc, 0, v16, vcc
	v_lshlrev_b32_e32 v8, 3, v8
	v_mov_b32_e32 v14, s13
	v_add_co_u32_e32 v24, vcc, s12, v8
	v_lshlrev_b64 v[5:6], 3, v[5:6]
	v_addc_co_u32_e32 v25, vcc, 0, v14, vcc
	v_mov_b32_e32 v15, s25
	v_add_co_u32_e32 v26, vcc, s24, v5
	v_addc_co_u32_e32 v27, vcc, v15, v6, vcc
	v_mov_b32_e32 v19, 0x600
	s_mov_b32 s23, 0
	v_mul_u32_u24_e32 v20, 24, v0
	v_lshl_or_b32 v21, v0, 2, v19
	s_cselect_b32 s16, 8, 16
	s_cselect_b32 s24, 12, 20
	s_waitcnt vmcnt(0)
	v_subrev_co_u32_e32 v5, vcc, s17, v9
	v_subbrev_co_u32_e32 v6, vcc, 0, v10, vcc
	v_subrev_co_u32_e32 v7, vcc, s17, v11
	v_cmp_lt_i64_e64 s[0:1], v[9:10], v[11:12]
	v_subbrev_co_u32_e32 v8, vcc, 0, v12, vcc
	s_branch .LBB52_7
.LBB52_6:                               ;   in Loop: Header=BB52_7 Depth=1
	s_or_b64 exec, exec, s[2:3]
	s_add_i32 s23, s23, 64
	s_cmp_lt_i32 s23, s22
	s_cbranch_scc0 .LBB52_27
.LBB52_7:                               ; =>This Loop Header: Depth=1
                                        ;     Child Loop BB52_10 Depth 2
                                        ;       Child Loop BB52_14 Depth 3
	v_or_b32_e32 v9, s23, v0
	v_ashrrev_i32_e32 v10, 31, v9
	v_mov_b32_e32 v28, 0
	v_mov_b32_e32 v31, 0
	s_and_saveexec_b64 s[12:13], s[0:1]
	s_cbranch_execz .LBB52_16
; %bb.8:                                ;   in Loop: Header=BB52_7 Depth=1
	v_lshlrev_b64 v[11:12], 3, v[9:10]
	v_mov_b32_e32 v13, s15
	v_add_co_u32_e64 v29, s[2:3], s14, v11
	v_addc_co_u32_e64 v30, s[2:3], v13, v12, s[2:3]
	v_mov_b32_e32 v12, v6
	v_cmp_gt_i32_e32 vcc, s22, v9
	v_mov_b32_e32 v28, 0
	s_mov_b64 s[18:19], 0
	v_mov_b32_e32 v11, v5
	v_mov_b32_e32 v31, 0
	s_branch .LBB52_10
.LBB52_9:                               ;   in Loop: Header=BB52_10 Depth=2
	s_or_b64 exec, exec, s[20:21]
	v_add_co_u32_e64 v11, s[2:3], 64, v11
	v_addc_co_u32_e64 v12, s[2:3], 0, v12, s[2:3]
	v_cmp_ge_i64_e64 s[2:3], v[11:12], v[7:8]
	s_or_b64 s[18:19], s[2:3], s[18:19]
	s_andn2_b64 exec, exec, s[18:19]
	s_cbranch_execz .LBB52_15
.LBB52_10:                              ;   Parent Loop BB52_7 Depth=1
                                        ; =>  This Loop Header: Depth=2
                                        ;       Child Loop BB52_14 Depth 3
	v_add_co_u32_e64 v17, s[2:3], v11, v0
	v_addc_co_u32_e64 v18, s[2:3], 0, v12, s[2:3]
	v_cmp_lt_i64_e64 s[2:3], v[17:18], v[7:8]
	v_mov_b32_e32 v32, 0
	v_mov_b32_e32 v13, 0
	;; [unrolled: 1-line block ×5, first 2 shown]
	s_and_saveexec_b64 s[20:21], s[2:3]
	s_cbranch_execz .LBB52_12
; %bb.11:                               ;   in Loop: Header=BB52_10 Depth=2
	v_lshlrev_b64 v[13:14], 2, v[17:18]
	v_mov_b32_e32 v15, s11
	v_add_co_u32_e64 v13, s[2:3], s10, v13
	v_addc_co_u32_e64 v14, s[2:3], v15, v14, s[2:3]
	global_load_dword v36, v[13:14], off
	v_lshlrev_b64 v[13:14], 5, v[17:18]
	v_add_co_u32_e64 v16, s[2:3], v24, v13
	v_addc_co_u32_e64 v17, s[2:3], v25, v14, s[2:3]
	v_add_co_u32_e64 v32, s[2:3], s16, v16
	v_addc_co_u32_e64 v33, s[2:3], 0, v17, s[2:3]
	;; [unrolled: 2-line block ×3, first 2 shown]
	global_load_dwordx2 v[13:14], v[16:17], off
	global_load_dword v15, v[32:33], off
                                        ; kill: killed $vgpr32 killed $vgpr33
                                        ; kill: killed $vgpr16 killed $vgpr17
	s_nop 0
	global_load_dword v16, v[34:35], off
	s_waitcnt vmcnt(3)
	v_subrev_u32_e32 v17, s17, v36
	v_lshlrev_b32_e32 v32, 1, v17
.LBB52_12:                              ;   in Loop: Header=BB52_10 Depth=2
	s_or_b64 exec, exec, s[20:21]
	ds_write_b32 v21, v32
	s_waitcnt vmcnt(0)
	ds_write2_b64 v20, v[13:14], v[15:16] offset1:1
	s_waitcnt lgkmcnt(0)
	; wave barrier
	s_and_saveexec_b64 s[20:21], vcc
	s_cbranch_execz .LBB52_9
; %bb.13:                               ;   in Loop: Header=BB52_10 Depth=2
	s_mov_b32 s25, 0
	v_mov_b32_e32 v13, 0
.LBB52_14:                              ;   Parent Loop BB52_7 Depth=1
                                        ;     Parent Loop BB52_10 Depth=2
                                        ; =>    This Inner Loop Header: Depth=3
	v_add_u32_e32 v14, s25, v19
	ds_read_b64 v[32:33], v14
	s_add_i32 s25, s25, 8
	s_cmpk_lg_i32 s25, 0x100
	s_waitcnt lgkmcnt(0)
	v_ashrrev_i32_e32 v14, 31, v32
	v_mul_lo_u32 v16, s6, v14
	v_mul_lo_u32 v17, s7, v32
	v_mad_u64_u32 v[14:15], s[2:3], s6, v32, 0
	v_add3_u32 v15, v15, v16, v17
	v_lshlrev_b64 v[14:15], 3, v[14:15]
	v_add_co_u32_e64 v14, s[2:3], v29, v14
	v_addc_co_u32_e64 v15, s[2:3], v30, v15, s[2:3]
	global_load_dwordx2 v[34:35], v[14:15], off
	ds_read_b128 v[14:17], v13
	s_waitcnt vmcnt(0) lgkmcnt(0)
	v_fmac_f32_e32 v28, v15, v34
	v_fmac_f32_e32 v31, v14, v34
	;; [unrolled: 1-line block ×3, first 2 shown]
	v_add_u32_e32 v14, 1, v32
	v_fma_f32 v18, -v15, v35, v31
	v_ashrrev_i32_e32 v15, 31, v14
	v_mul_lo_u32 v31, s6, v15
	v_mul_lo_u32 v32, s7, v14
	v_mad_u64_u32 v[14:15], s[2:3], s6, v14, 0
	v_add3_u32 v15, v15, v31, v32
	v_lshlrev_b64 v[14:15], 3, v[14:15]
	v_add_co_u32_e64 v14, s[2:3], v29, v14
	v_addc_co_u32_e64 v15, s[2:3], v30, v15, s[2:3]
	global_load_dwordx2 v[14:15], v[14:15], off
	s_waitcnt vmcnt(0)
	v_fmac_f32_e32 v18, v16, v14
	v_fmac_f32_e32 v28, v17, v14
	v_ashrrev_i32_e32 v14, 31, v33
	v_fma_f32 v18, -v17, v15, v18
	v_fmac_f32_e32 v28, v16, v15
	v_mul_lo_u32 v16, s6, v14
	v_mul_lo_u32 v17, s7, v33
	v_mad_u64_u32 v[14:15], s[2:3], s6, v33, 0
	v_add3_u32 v15, v15, v16, v17
	v_lshlrev_b64 v[14:15], 3, v[14:15]
	v_add_co_u32_e64 v14, s[2:3], v29, v14
	v_addc_co_u32_e64 v15, s[2:3], v30, v15, s[2:3]
	global_load_dwordx2 v[31:32], v[14:15], off
	ds_read2_b64 v[14:17], v13 offset0:3 offset1:4
	v_add_u32_e32 v13, 48, v13
	s_waitcnt vmcnt(0) lgkmcnt(0)
	v_fmac_f32_e32 v28, v15, v31
	v_fmac_f32_e32 v18, v14, v31
	;; [unrolled: 1-line block ×3, first 2 shown]
	v_add_u32_e32 v14, 1, v33
	v_fma_f32 v18, -v15, v32, v18
	v_ashrrev_i32_e32 v15, 31, v14
	v_mul_lo_u32 v31, s6, v15
	v_mul_lo_u32 v32, s7, v14
	v_mad_u64_u32 v[14:15], s[2:3], s6, v14, 0
	v_add3_u32 v15, v15, v31, v32
	v_lshlrev_b64 v[14:15], 3, v[14:15]
	v_add_co_u32_e64 v14, s[2:3], v29, v14
	v_addc_co_u32_e64 v15, s[2:3], v30, v15, s[2:3]
	global_load_dwordx2 v[14:15], v[14:15], off
	s_waitcnt vmcnt(0)
	v_fmac_f32_e32 v18, v16, v14
	v_fmac_f32_e32 v28, v17, v14
	v_fma_f32 v31, -v17, v15, v18
	v_fmac_f32_e32 v28, v16, v15
	s_cbranch_scc1 .LBB52_14
	s_branch .LBB52_9
.LBB52_15:                              ;   in Loop: Header=BB52_7 Depth=1
	s_or_b64 exec, exec, s[18:19]
.LBB52_16:                              ;   in Loop: Header=BB52_7 Depth=1
	s_or_b64 exec, exec, s[12:13]
	v_cmp_gt_i32_e32 vcc, s22, v9
	s_and_saveexec_b64 s[2:3], vcc
	s_cbranch_execz .LBB52_6
; %bb.17:                               ;   in Loop: Header=BB52_7 Depth=1
	s_and_saveexec_b64 s[12:13], s[4:5]
	s_xor_b64 s[12:13], exec, s[12:13]
	s_cbranch_execz .LBB52_22
; %bb.18:                               ;   in Loop: Header=BB52_7 Depth=1
	s_mov_b64 s[18:19], -1
	s_and_b64 vcc, exec, s[8:9]
	s_cbranch_vccz .LBB52_20
; %bb.19:                               ;   in Loop: Header=BB52_7 Depth=1
	v_lshlrev_b64 v[11:12], 3, v[9:10]
	v_mul_f32_e64 v15, v28, -v2
	v_add_co_u32_e32 v11, vcc, v26, v11
	v_addc_co_u32_e32 v12, vcc, v27, v12, vcc
	global_load_dwordx2 v[13:14], v[11:12], off
	v_mul_f32_e32 v16, v1, v28
	v_fmac_f32_e32 v15, v1, v31
	v_fmac_f32_e32 v16, v2, v31
	s_mov_b64 s[18:19], 0
	s_waitcnt vmcnt(0)
	v_fmac_f32_e32 v15, v3, v13
	v_fmac_f32_e32 v16, v4, v13
	v_fma_f32 v15, -v4, v14, v15
	v_fmac_f32_e32 v16, v3, v14
	global_store_dwordx2 v[11:12], v[15:16], off
.LBB52_20:                              ;   in Loop: Header=BB52_7 Depth=1
	s_andn2_b64 vcc, exec, s[18:19]
	s_cbranch_vccnz .LBB52_22
; %bb.21:                               ;   in Loop: Header=BB52_7 Depth=1
	v_mul_lo_u32 v11, s27, v9
	v_mul_lo_u32 v12, s26, v10
	v_mad_u64_u32 v[9:10], s[18:19], s26, v9, 0
	v_mul_f32_e64 v13, v28, -v2
	v_mul_f32_e32 v14, v1, v28
	v_add3_u32 v10, v10, v12, v11
	v_lshlrev_b64 v[9:10], 3, v[9:10]
	v_fmac_f32_e32 v13, v1, v31
	v_add_co_u32_e32 v9, vcc, v22, v9
	v_addc_co_u32_e32 v10, vcc, v23, v10, vcc
	global_load_dwordx2 v[11:12], v[9:10], off
	v_fmac_f32_e32 v14, v2, v31
                                        ; implicit-def: $vgpr28
                                        ; implicit-def: $vgpr31
	s_waitcnt vmcnt(0)
	v_fmac_f32_e32 v13, v3, v11
	v_fmac_f32_e32 v14, v4, v11
	v_fma_f32 v13, -v4, v12, v13
	v_fmac_f32_e32 v14, v3, v12
	global_store_dwordx2 v[9:10], v[13:14], off
                                        ; implicit-def: $vgpr9
.LBB52_22:                              ;   in Loop: Header=BB52_7 Depth=1
	s_andn2_saveexec_b64 s[12:13], s[12:13]
	s_cbranch_execz .LBB52_6
; %bb.23:                               ;   in Loop: Header=BB52_7 Depth=1
	v_mul_f32_e64 v11, v28, -v2
	v_mul_f32_e32 v12, v1, v28
	v_fmac_f32_e32 v11, v1, v31
	v_fmac_f32_e32 v12, v2, v31
	s_mov_b64 s[12:13], -1
	s_and_b64 vcc, exec, s[8:9]
	s_cbranch_vccz .LBB52_25
; %bb.24:                               ;   in Loop: Header=BB52_7 Depth=1
	v_lshlrev_b64 v[13:14], 3, v[9:10]
	s_mov_b64 s[12:13], 0
	v_add_co_u32_e32 v13, vcc, v26, v13
	v_addc_co_u32_e32 v14, vcc, v27, v14, vcc
	global_store_dwordx2 v[13:14], v[11:12], off
.LBB52_25:                              ;   in Loop: Header=BB52_7 Depth=1
	s_andn2_b64 vcc, exec, s[12:13]
	s_cbranch_vccnz .LBB52_6
; %bb.26:                               ;   in Loop: Header=BB52_7 Depth=1
	v_mul_lo_u32 v13, s27, v9
	v_mul_lo_u32 v14, s26, v10
	v_mad_u64_u32 v[9:10], s[12:13], s26, v9, 0
	v_add3_u32 v10, v10, v14, v13
	v_lshlrev_b64 v[9:10], 3, v[9:10]
	v_add_co_u32_e32 v9, vcc, v22, v9
	v_addc_co_u32_e32 v10, vcc, v23, v10, vcc
	global_store_dwordx2 v[9:10], v[11:12], off
	s_branch .LBB52_6
.LBB52_27:
	s_endpgm
	.section	.rodata,"a",@progbits
	.p2align	6, 0x0
	.amdhsa_kernel _ZN9rocsparseL29bsrmmnt_small_blockdim_kernelILj64ELj64ELj2Eli21rocsparse_complex_numIfES2_S2_S2_EEv20rocsparse_direction_T3_S4_llNS_24const_host_device_scalarIT7_EEPKT2_PKS4_PKT4_PKT5_llS7_PT6_ll16rocsparse_order_21rocsparse_index_base_b
		.amdhsa_group_segment_fixed_size 1792
		.amdhsa_private_segment_fixed_size 0
		.amdhsa_kernarg_size 392
		.amdhsa_user_sgpr_count 6
		.amdhsa_user_sgpr_private_segment_buffer 1
		.amdhsa_user_sgpr_dispatch_ptr 0
		.amdhsa_user_sgpr_queue_ptr 0
		.amdhsa_user_sgpr_kernarg_segment_ptr 1
		.amdhsa_user_sgpr_dispatch_id 0
		.amdhsa_user_sgpr_flat_scratch_init 0
		.amdhsa_user_sgpr_private_segment_size 0
		.amdhsa_uses_dynamic_stack 0
		.amdhsa_system_sgpr_private_segment_wavefront_offset 0
		.amdhsa_system_sgpr_workgroup_id_x 1
		.amdhsa_system_sgpr_workgroup_id_y 0
		.amdhsa_system_sgpr_workgroup_id_z 0
		.amdhsa_system_sgpr_workgroup_info 0
		.amdhsa_system_vgpr_workitem_id 0
		.amdhsa_next_free_vgpr 37
		.amdhsa_next_free_sgpr 61
		.amdhsa_reserve_vcc 1
		.amdhsa_reserve_flat_scratch 0
		.amdhsa_float_round_mode_32 0
		.amdhsa_float_round_mode_16_64 0
		.amdhsa_float_denorm_mode_32 3
		.amdhsa_float_denorm_mode_16_64 3
		.amdhsa_dx10_clamp 1
		.amdhsa_ieee_mode 1
		.amdhsa_fp16_overflow 0
		.amdhsa_exception_fp_ieee_invalid_op 0
		.amdhsa_exception_fp_denorm_src 0
		.amdhsa_exception_fp_ieee_div_zero 0
		.amdhsa_exception_fp_ieee_overflow 0
		.amdhsa_exception_fp_ieee_underflow 0
		.amdhsa_exception_fp_ieee_inexact 0
		.amdhsa_exception_int_div_zero 0
	.end_amdhsa_kernel
	.section	.text._ZN9rocsparseL29bsrmmnt_small_blockdim_kernelILj64ELj64ELj2Eli21rocsparse_complex_numIfES2_S2_S2_EEv20rocsparse_direction_T3_S4_llNS_24const_host_device_scalarIT7_EEPKT2_PKS4_PKT4_PKT5_llS7_PT6_ll16rocsparse_order_21rocsparse_index_base_b,"axG",@progbits,_ZN9rocsparseL29bsrmmnt_small_blockdim_kernelILj64ELj64ELj2Eli21rocsparse_complex_numIfES2_S2_S2_EEv20rocsparse_direction_T3_S4_llNS_24const_host_device_scalarIT7_EEPKT2_PKS4_PKT4_PKT5_llS7_PT6_ll16rocsparse_order_21rocsparse_index_base_b,comdat
.Lfunc_end52:
	.size	_ZN9rocsparseL29bsrmmnt_small_blockdim_kernelILj64ELj64ELj2Eli21rocsparse_complex_numIfES2_S2_S2_EEv20rocsparse_direction_T3_S4_llNS_24const_host_device_scalarIT7_EEPKT2_PKS4_PKT4_PKT5_llS7_PT6_ll16rocsparse_order_21rocsparse_index_base_b, .Lfunc_end52-_ZN9rocsparseL29bsrmmnt_small_blockdim_kernelILj64ELj64ELj2Eli21rocsparse_complex_numIfES2_S2_S2_EEv20rocsparse_direction_T3_S4_llNS_24const_host_device_scalarIT7_EEPKT2_PKS4_PKT4_PKT5_llS7_PT6_ll16rocsparse_order_21rocsparse_index_base_b
                                        ; -- End function
	.set _ZN9rocsparseL29bsrmmnt_small_blockdim_kernelILj64ELj64ELj2Eli21rocsparse_complex_numIfES2_S2_S2_EEv20rocsparse_direction_T3_S4_llNS_24const_host_device_scalarIT7_EEPKT2_PKS4_PKT4_PKT5_llS7_PT6_ll16rocsparse_order_21rocsparse_index_base_b.num_vgpr, 37
	.set _ZN9rocsparseL29bsrmmnt_small_blockdim_kernelILj64ELj64ELj2Eli21rocsparse_complex_numIfES2_S2_S2_EEv20rocsparse_direction_T3_S4_llNS_24const_host_device_scalarIT7_EEPKT2_PKS4_PKT4_PKT5_llS7_PT6_ll16rocsparse_order_21rocsparse_index_base_b.num_agpr, 0
	.set _ZN9rocsparseL29bsrmmnt_small_blockdim_kernelILj64ELj64ELj2Eli21rocsparse_complex_numIfES2_S2_S2_EEv20rocsparse_direction_T3_S4_llNS_24const_host_device_scalarIT7_EEPKT2_PKS4_PKT4_PKT5_llS7_PT6_ll16rocsparse_order_21rocsparse_index_base_b.numbered_sgpr, 28
	.set _ZN9rocsparseL29bsrmmnt_small_blockdim_kernelILj64ELj64ELj2Eli21rocsparse_complex_numIfES2_S2_S2_EEv20rocsparse_direction_T3_S4_llNS_24const_host_device_scalarIT7_EEPKT2_PKS4_PKT4_PKT5_llS7_PT6_ll16rocsparse_order_21rocsparse_index_base_b.num_named_barrier, 0
	.set _ZN9rocsparseL29bsrmmnt_small_blockdim_kernelILj64ELj64ELj2Eli21rocsparse_complex_numIfES2_S2_S2_EEv20rocsparse_direction_T3_S4_llNS_24const_host_device_scalarIT7_EEPKT2_PKS4_PKT4_PKT5_llS7_PT6_ll16rocsparse_order_21rocsparse_index_base_b.private_seg_size, 0
	.set _ZN9rocsparseL29bsrmmnt_small_blockdim_kernelILj64ELj64ELj2Eli21rocsparse_complex_numIfES2_S2_S2_EEv20rocsparse_direction_T3_S4_llNS_24const_host_device_scalarIT7_EEPKT2_PKS4_PKT4_PKT5_llS7_PT6_ll16rocsparse_order_21rocsparse_index_base_b.uses_vcc, 1
	.set _ZN9rocsparseL29bsrmmnt_small_blockdim_kernelILj64ELj64ELj2Eli21rocsparse_complex_numIfES2_S2_S2_EEv20rocsparse_direction_T3_S4_llNS_24const_host_device_scalarIT7_EEPKT2_PKS4_PKT4_PKT5_llS7_PT6_ll16rocsparse_order_21rocsparse_index_base_b.uses_flat_scratch, 0
	.set _ZN9rocsparseL29bsrmmnt_small_blockdim_kernelILj64ELj64ELj2Eli21rocsparse_complex_numIfES2_S2_S2_EEv20rocsparse_direction_T3_S4_llNS_24const_host_device_scalarIT7_EEPKT2_PKS4_PKT4_PKT5_llS7_PT6_ll16rocsparse_order_21rocsparse_index_base_b.has_dyn_sized_stack, 0
	.set _ZN9rocsparseL29bsrmmnt_small_blockdim_kernelILj64ELj64ELj2Eli21rocsparse_complex_numIfES2_S2_S2_EEv20rocsparse_direction_T3_S4_llNS_24const_host_device_scalarIT7_EEPKT2_PKS4_PKT4_PKT5_llS7_PT6_ll16rocsparse_order_21rocsparse_index_base_b.has_recursion, 0
	.set _ZN9rocsparseL29bsrmmnt_small_blockdim_kernelILj64ELj64ELj2Eli21rocsparse_complex_numIfES2_S2_S2_EEv20rocsparse_direction_T3_S4_llNS_24const_host_device_scalarIT7_EEPKT2_PKS4_PKT4_PKT5_llS7_PT6_ll16rocsparse_order_21rocsparse_index_base_b.has_indirect_call, 0
	.section	.AMDGPU.csdata,"",@progbits
; Kernel info:
; codeLenInByte = 1628
; TotalNumSgprs: 32
; NumVgprs: 37
; ScratchSize: 0
; MemoryBound: 0
; FloatMode: 240
; IeeeMode: 1
; LDSByteSize: 1792 bytes/workgroup (compile time only)
; SGPRBlocks: 8
; VGPRBlocks: 9
; NumSGPRsForWavesPerEU: 65
; NumVGPRsForWavesPerEU: 37
; Occupancy: 6
; WaveLimiterHint : 0
; COMPUTE_PGM_RSRC2:SCRATCH_EN: 0
; COMPUTE_PGM_RSRC2:USER_SGPR: 6
; COMPUTE_PGM_RSRC2:TRAP_HANDLER: 0
; COMPUTE_PGM_RSRC2:TGID_X_EN: 1
; COMPUTE_PGM_RSRC2:TGID_Y_EN: 0
; COMPUTE_PGM_RSRC2:TGID_Z_EN: 0
; COMPUTE_PGM_RSRC2:TIDIG_COMP_CNT: 0
	.section	.text._ZN9rocsparseL29bsrmmnt_small_blockdim_kernelILj64ELj8ELj2Ell21rocsparse_complex_numIfES2_S2_S2_EEv20rocsparse_direction_T3_S4_llNS_24const_host_device_scalarIT7_EEPKT2_PKS4_PKT4_PKT5_llS7_PT6_ll16rocsparse_order_21rocsparse_index_base_b,"axG",@progbits,_ZN9rocsparseL29bsrmmnt_small_blockdim_kernelILj64ELj8ELj2Ell21rocsparse_complex_numIfES2_S2_S2_EEv20rocsparse_direction_T3_S4_llNS_24const_host_device_scalarIT7_EEPKT2_PKS4_PKT4_PKT5_llS7_PT6_ll16rocsparse_order_21rocsparse_index_base_b,comdat
	.globl	_ZN9rocsparseL29bsrmmnt_small_blockdim_kernelILj64ELj8ELj2Ell21rocsparse_complex_numIfES2_S2_S2_EEv20rocsparse_direction_T3_S4_llNS_24const_host_device_scalarIT7_EEPKT2_PKS4_PKT4_PKT5_llS7_PT6_ll16rocsparse_order_21rocsparse_index_base_b ; -- Begin function _ZN9rocsparseL29bsrmmnt_small_blockdim_kernelILj64ELj8ELj2Ell21rocsparse_complex_numIfES2_S2_S2_EEv20rocsparse_direction_T3_S4_llNS_24const_host_device_scalarIT7_EEPKT2_PKS4_PKT4_PKT5_llS7_PT6_ll16rocsparse_order_21rocsparse_index_base_b
	.p2align	8
	.type	_ZN9rocsparseL29bsrmmnt_small_blockdim_kernelILj64ELj8ELj2Ell21rocsparse_complex_numIfES2_S2_S2_EEv20rocsparse_direction_T3_S4_llNS_24const_host_device_scalarIT7_EEPKT2_PKS4_PKT4_PKT5_llS7_PT6_ll16rocsparse_order_21rocsparse_index_base_b,@function
_ZN9rocsparseL29bsrmmnt_small_blockdim_kernelILj64ELj8ELj2Ell21rocsparse_complex_numIfES2_S2_S2_EEv20rocsparse_direction_T3_S4_llNS_24const_host_device_scalarIT7_EEPKT2_PKS4_PKT4_PKT5_llS7_PT6_ll16rocsparse_order_21rocsparse_index_base_b: ; @_ZN9rocsparseL29bsrmmnt_small_blockdim_kernelILj64ELj8ELj2Ell21rocsparse_complex_numIfES2_S2_S2_EEv20rocsparse_direction_T3_S4_llNS_24const_host_device_scalarIT7_EEPKT2_PKS4_PKT4_PKT5_llS7_PT6_ll16rocsparse_order_21rocsparse_index_base_b
; %bb.0:
	s_load_dwordx2 s[0:1], s[4:5], 0x28
	s_load_dwordx2 s[2:3], s[4:5], 0x60
	s_load_dwordx4 s[24:27], s[4:5], 0x80
	s_add_u32 s7, s4, 40
	s_addc_u32 s8, s5, 0
	s_add_u32 s9, s4, 0x60
	s_addc_u32 s10, s5, 0
	s_waitcnt lgkmcnt(0)
	s_bitcmp1_b32 s26, 0
	s_cselect_b32 s1, s8, s1
	s_cselect_b32 s0, s7, s0
	v_mov_b32_e32 v1, s0
	v_mov_b32_e32 v2, s1
	flat_load_dwordx2 v[1:2], v[1:2]
	s_cselect_b32 s0, s10, s3
	s_cselect_b32 s1, s9, s2
	v_mov_b32_e32 v3, s1
	v_mov_b32_e32 v4, s0
	flat_load_dwordx2 v[3:4], v[3:4]
	s_waitcnt vmcnt(0) lgkmcnt(0)
	v_cmp_eq_f32_e32 vcc, 0, v1
	v_cmp_eq_f32_e64 s[0:1], 0, v2
	s_and_b64 s[8:9], vcc, s[0:1]
	s_mov_b64 s[0:1], -1
	s_and_saveexec_b64 s[2:3], s[8:9]
; %bb.1:
	v_cmp_neq_f32_e32 vcc, 1.0, v3
	v_cmp_neq_f32_e64 s[0:1], 0, v4
	s_or_b64 s[0:1], vcc, s[0:1]
	s_orn2_b64 s[0:1], s[0:1], exec
; %bb.2:
	s_or_b64 exec, exec, s[2:3]
	s_and_saveexec_b64 s[2:3], s[0:1]
	s_cbranch_execz .LBB53_27
; %bb.3:
	s_load_dword s0, s[4:5], 0x9c
	s_load_dwordx4 s[16:19], s[4:5], 0x8
	v_mov_b32_e32 v6, 0
	s_waitcnt lgkmcnt(0)
	s_and_b32 s0, s0, 0xffff
	s_mul_i32 s6, s6, s0
	v_add_u32_e32 v7, s6, v0
	v_lshrrev_b32_e32 v5, 4, v7
	v_cmp_gt_i64_e32 vcc, s[16:17], v[5:6]
	s_and_b64 exec, exec, vcc
	s_cbranch_execz .LBB53_27
; %bb.4:
	v_cmp_lt_i64_e64 s[0:1], s[18:19], 1
	s_and_b64 vcc, exec, s[0:1]
	s_cbranch_vccnz .LBB53_27
; %bb.5:
	s_load_dwordx8 s[8:15], s[4:5], 0x30
	v_lshlrev_b32_e32 v5, 3, v5
	v_and_b32_e32 v13, 8, v7
	v_cmp_neq_f32_e32 vcc, 0, v3
	v_cmp_neq_f32_e64 s[0:1], 0, v4
	s_waitcnt lgkmcnt(0)
	global_load_dwordx4 v[9:12], v5, s[8:9]
	s_load_dword s2, s[4:5], 0x0
	s_load_dwordx4 s[20:23], s[4:5], 0x68
	s_load_dwordx2 s[6:7], s[4:5], 0x50
	s_or_b64 s[8:9], vcc, s[0:1]
	v_mov_b32_e32 v15, s13
	v_add_co_u32_e32 v18, vcc, s12, v13
	v_lshrrev_b32_e32 v8, 3, v7
	v_and_b32_e32 v7, -8, v7
	v_addc_co_u32_e32 v15, vcc, 0, v15, vcc
	v_and_b32_e32 v21, 7, v0
	v_lshrrev_b32_e32 v5, 3, v0
	v_mov_b32_e32 v0, 0x600
	s_waitcnt lgkmcnt(0)
	v_mov_b32_e32 v17, s21
	v_add_co_u32_e32 v24, vcc, s20, v7
	v_lshl_or_b32 v0, v5, 6, v0
	v_mul_u32_u24_e32 v22, 0xc0, v5
	v_mad_u64_u32 v[5:6], s[0:1], v8, s22, 0
	v_addc_co_u32_e32 v25, vcc, 0, v17, vcc
	s_cmp_lg_u32 s24, 1
	v_add_co_u32_e32 v7, vcc, v18, v13
	s_cselect_b64 s[16:17], -1, 0
	s_cmp_eq_u32 s2, 0
	v_addc_co_u32_e32 v13, vcc, 0, v15, vcc
	s_cselect_b64 vcc, -1, 0
	v_cndmask_b32_e32 v27, v18, v7, vcc
	v_mad_u64_u32 v[6:7], s[0:1], v8, s23, v[6:7]
	v_mov_b32_e32 v16, s21
	v_cndmask_b32_e32 v26, v15, v13, vcc
	v_lshlrev_b64 v[5:6], 3, v[5:6]
	s_and_b64 s[0:1], vcc, exec
	v_add_co_u32_e32 v28, vcc, s20, v5
	v_addc_co_u32_e32 v29, vcc, v16, v6, vcc
	v_mul_u32_u24_e32 v14, 24, v21
	s_mov_b32 s28, s25
	s_mov_b64 s[4:5], 0
	v_lshl_or_b32 v23, v21, 3, v0
	s_cselect_b32 s29, 8, 16
	s_cselect_b32 s30, 12, 20
	v_add_u32_e32 v30, v22, v14
	s_lshl_b64 s[12:13], s[6:7], 3
	s_waitcnt vmcnt(0)
	v_subrev_co_u32_e32 v5, vcc, s25, v9
	v_subbrev_co_u32_e32 v6, vcc, 0, v10, vcc
	v_subrev_co_u32_e32 v7, vcc, s25, v11
	v_cmp_lt_i64_e64 s[0:1], v[9:10], v[11:12]
	v_subbrev_co_u32_e32 v8, vcc, 0, v12, vcc
	s_branch .LBB53_7
.LBB53_6:                               ;   in Loop: Header=BB53_7 Depth=1
	s_or_b64 exec, exec, s[2:3]
	s_add_u32 s4, s4, 8
	v_mov_b32_e32 v9, s18
	s_addc_u32 s5, s5, 0
	v_mov_b32_e32 v10, s19
	v_cmp_lt_i64_e32 vcc, s[4:5], v[9:10]
	s_cbranch_vccz .LBB53_27
.LBB53_7:                               ; =>This Loop Header: Depth=1
                                        ;     Child Loop BB53_10 Depth 2
                                        ;       Child Loop BB53_14 Depth 3
	v_mov_b32_e32 v10, s5
	v_or_b32_e32 v9, s4, v21
	v_mov_b32_e32 v31, 0
	v_mov_b32_e32 v32, 0
	s_and_saveexec_b64 s[20:21], s[0:1]
	s_cbranch_execz .LBB53_16
; %bb.8:                                ;   in Loop: Header=BB53_7 Depth=1
	v_lshlrev_b64 v[11:12], 3, v[9:10]
	v_mov_b32_e32 v13, s15
	v_add_co_u32_e64 v33, s[2:3], s14, v11
	v_cmp_gt_i64_e32 vcc, s[18:19], v[9:10]
	v_addc_co_u32_e64 v34, s[2:3], v13, v12, s[2:3]
	v_mov_b32_e32 v12, v6
	v_mov_b32_e32 v31, 0
	s_mov_b64 s[24:25], 0
	v_mov_b32_e32 v11, v5
	v_mov_b32_e32 v32, 0
	s_branch .LBB53_10
.LBB53_9:                               ;   in Loop: Header=BB53_10 Depth=2
	s_or_b64 exec, exec, s[26:27]
	v_add_co_u32_e64 v11, s[2:3], 8, v11
	v_addc_co_u32_e64 v12, s[2:3], 0, v12, s[2:3]
	v_cmp_ge_i64_e64 s[2:3], v[11:12], v[7:8]
	s_or_b64 s[24:25], s[2:3], s[24:25]
	s_andn2_b64 exec, exec, s[24:25]
	s_cbranch_execz .LBB53_15
.LBB53_10:                              ;   Parent Loop BB53_7 Depth=1
                                        ; =>  This Loop Header: Depth=2
                                        ;       Child Loop BB53_14 Depth 3
	v_add_co_u32_e64 v17, s[2:3], v11, v21
	v_addc_co_u32_e64 v18, s[2:3], 0, v12, s[2:3]
	v_cmp_lt_i64_e64 s[2:3], v[17:18], v[7:8]
	v_mov_b32_e32 v19, 0
	v_mov_b32_e32 v20, 0
	;; [unrolled: 1-line block ×6, first 2 shown]
	s_and_saveexec_b64 s[26:27], s[2:3]
	s_cbranch_execz .LBB53_12
; %bb.11:                               ;   in Loop: Header=BB53_10 Depth=2
	v_lshlrev_b64 v[13:14], 3, v[17:18]
	v_mov_b32_e32 v15, s11
	v_add_co_u32_e64 v13, s[2:3], s10, v13
	v_addc_co_u32_e64 v14, s[2:3], v15, v14, s[2:3]
	global_load_dwordx2 v[19:20], v[13:14], off
	v_lshlrev_b64 v[13:14], 5, v[17:18]
	v_add_co_u32_e64 v17, s[2:3], v27, v13
	v_addc_co_u32_e64 v18, s[2:3], v26, v14, s[2:3]
	v_add_co_u32_e64 v35, s[2:3], s29, v17
	v_addc_co_u32_e64 v36, s[2:3], 0, v18, s[2:3]
	v_add_co_u32_e64 v37, s[2:3], s30, v17
	v_addc_co_u32_e64 v38, s[2:3], 0, v18, s[2:3]
	global_load_dwordx2 v[13:14], v[17:18], off
	global_load_dword v15, v[35:36], off
	global_load_dword v16, v[37:38], off
	s_waitcnt vmcnt(3)
	v_subrev_co_u32_e64 v17, s[2:3], s28, v19
	v_subbrev_co_u32_e64 v18, s[2:3], 0, v20, s[2:3]
	v_lshlrev_b64 v[19:20], 1, v[17:18]
.LBB53_12:                              ;   in Loop: Header=BB53_10 Depth=2
	s_or_b64 exec, exec, s[26:27]
	ds_write_b64 v23, v[19:20]
	s_waitcnt vmcnt(0)
	ds_write2_b64 v30, v[13:14], v[15:16] offset1:1
	s_waitcnt lgkmcnt(0)
	; wave barrier
	s_and_saveexec_b64 s[26:27], vcc
	s_cbranch_execz .LBB53_9
; %bb.13:                               ;   in Loop: Header=BB53_10 Depth=2
	s_mov_b32 s31, 0
	v_mov_b32_e32 v13, v22
.LBB53_14:                              ;   Parent Loop BB53_7 Depth=1
                                        ;     Parent Loop BB53_10 Depth=2
                                        ; =>    This Inner Loop Header: Depth=3
	v_add_u32_e32 v14, s31, v0
	ds_read_b128 v[14:17], v14
	v_mov_b32_e32 v20, s13
	s_add_i32 s31, s31, 16
	s_cmp_lg_u32 s31, 64
	s_waitcnt lgkmcnt(0)
	v_mul_lo_u32 v18, v15, s6
	v_mul_lo_u32 v19, v14, s7
	v_mad_u64_u32 v[14:15], s[2:3], v14, s6, 0
	v_mul_lo_u32 v35, v17, s6
	v_mul_lo_u32 v36, v16, s7
	v_mad_u64_u32 v[16:17], s[2:3], v16, s6, 0
	v_add3_u32 v15, v15, v19, v18
	v_lshlrev_b64 v[14:15], 3, v[14:15]
	v_add3_u32 v17, v17, v36, v35
	v_lshlrev_b64 v[16:17], 3, v[16:17]
	v_add_co_u32_e64 v14, s[2:3], v33, v14
	v_addc_co_u32_e64 v15, s[2:3], v34, v15, s[2:3]
	v_add_co_u32_e64 v16, s[2:3], v33, v16
	v_addc_co_u32_e64 v17, s[2:3], v34, v17, s[2:3]
	global_load_dwordx2 v[18:19], v[14:15], off
	v_add_co_u32_e64 v14, s[2:3], s12, v14
	v_addc_co_u32_e64 v15, s[2:3], v15, v20, s[2:3]
	v_add_co_u32_e64 v35, s[2:3], s12, v16
	v_addc_co_u32_e64 v36, s[2:3], v17, v20, s[2:3]
	global_load_dwordx2 v[39:40], v[14:15], off
	global_load_dwordx2 v[41:42], v[16:17], off
	;; [unrolled: 1-line block ×3, first 2 shown]
	ds_read_b128 v[14:17], v13
	ds_read2_b64 v[35:38], v13 offset0:3 offset1:4
	v_add_u32_e32 v13, 48, v13
	s_waitcnt vmcnt(3) lgkmcnt(1)
	v_fmac_f32_e32 v32, v14, v18
	v_fmac_f32_e32 v31, v15, v18
	v_fma_f32 v15, -v15, v19, v32
	v_fmac_f32_e32 v31, v14, v19
	s_waitcnt vmcnt(2)
	v_fmac_f32_e32 v15, v16, v39
	v_fmac_f32_e32 v31, v17, v39
	v_fma_f32 v14, -v17, v40, v15
	v_fmac_f32_e32 v31, v16, v40
	s_waitcnt vmcnt(1) lgkmcnt(0)
	v_fmac_f32_e32 v14, v35, v41
	v_fmac_f32_e32 v31, v36, v41
	v_fma_f32 v14, -v36, v42, v14
	v_fmac_f32_e32 v31, v35, v42
	s_waitcnt vmcnt(0)
	v_fmac_f32_e32 v14, v37, v43
	v_fmac_f32_e32 v31, v38, v43
	v_fma_f32 v32, -v38, v44, v14
	v_fmac_f32_e32 v31, v37, v44
	s_cbranch_scc1 .LBB53_14
	s_branch .LBB53_9
.LBB53_15:                              ;   in Loop: Header=BB53_7 Depth=1
	s_or_b64 exec, exec, s[24:25]
.LBB53_16:                              ;   in Loop: Header=BB53_7 Depth=1
	s_or_b64 exec, exec, s[20:21]
	v_cmp_gt_i64_e32 vcc, s[18:19], v[9:10]
	s_and_saveexec_b64 s[2:3], vcc
	s_cbranch_execz .LBB53_6
; %bb.17:                               ;   in Loop: Header=BB53_7 Depth=1
	s_and_saveexec_b64 s[20:21], s[8:9]
	s_xor_b64 s[20:21], exec, s[20:21]
	s_cbranch_execz .LBB53_22
; %bb.18:                               ;   in Loop: Header=BB53_7 Depth=1
	s_mov_b64 s[24:25], -1
	s_and_b64 vcc, exec, s[16:17]
	s_cbranch_vccz .LBB53_20
; %bb.19:                               ;   in Loop: Header=BB53_7 Depth=1
	v_lshlrev_b64 v[11:12], 3, v[9:10]
	v_mul_f32_e64 v15, v31, -v2
	v_add_co_u32_e32 v11, vcc, v28, v11
	v_addc_co_u32_e32 v12, vcc, v29, v12, vcc
	global_load_dwordx2 v[13:14], v[11:12], off
	v_mul_f32_e32 v16, v1, v31
	v_fmac_f32_e32 v15, v1, v32
	v_fmac_f32_e32 v16, v2, v32
	s_mov_b64 s[24:25], 0
	s_waitcnt vmcnt(0)
	v_fmac_f32_e32 v15, v3, v13
	v_fmac_f32_e32 v16, v4, v13
	v_fma_f32 v15, -v4, v14, v15
	v_fmac_f32_e32 v16, v3, v14
	global_store_dwordx2 v[11:12], v[15:16], off
.LBB53_20:                              ;   in Loop: Header=BB53_7 Depth=1
	s_andn2_b64 vcc, exec, s[24:25]
	s_cbranch_vccnz .LBB53_22
; %bb.21:                               ;   in Loop: Header=BB53_7 Depth=1
	v_mul_lo_u32 v11, v10, s22
	v_mul_lo_u32 v12, v9, s23
	v_mad_u64_u32 v[9:10], s[24:25], v9, s22, 0
	v_mul_f32_e64 v13, v31, -v2
	v_mul_f32_e32 v14, v1, v31
	v_add3_u32 v10, v10, v12, v11
	v_lshlrev_b64 v[9:10], 3, v[9:10]
	v_fmac_f32_e32 v13, v1, v32
	v_add_co_u32_e32 v9, vcc, v24, v9
	v_addc_co_u32_e32 v10, vcc, v25, v10, vcc
	global_load_dwordx2 v[11:12], v[9:10], off
	v_fmac_f32_e32 v14, v2, v32
                                        ; implicit-def: $vgpr31
                                        ; implicit-def: $vgpr32
	s_waitcnt vmcnt(0)
	v_fmac_f32_e32 v13, v3, v11
	v_fmac_f32_e32 v14, v4, v11
	v_fma_f32 v13, -v4, v12, v13
	v_fmac_f32_e32 v14, v3, v12
	global_store_dwordx2 v[9:10], v[13:14], off
                                        ; implicit-def: $vgpr9_vgpr10
.LBB53_22:                              ;   in Loop: Header=BB53_7 Depth=1
	s_andn2_saveexec_b64 s[20:21], s[20:21]
	s_cbranch_execz .LBB53_6
; %bb.23:                               ;   in Loop: Header=BB53_7 Depth=1
	v_mul_f32_e64 v11, v31, -v2
	v_mul_f32_e32 v12, v1, v31
	v_fmac_f32_e32 v11, v1, v32
	v_fmac_f32_e32 v12, v2, v32
	s_mov_b64 s[20:21], -1
	s_and_b64 vcc, exec, s[16:17]
	s_cbranch_vccz .LBB53_25
; %bb.24:                               ;   in Loop: Header=BB53_7 Depth=1
	v_lshlrev_b64 v[13:14], 3, v[9:10]
	s_mov_b64 s[20:21], 0
	v_add_co_u32_e32 v13, vcc, v28, v13
	v_addc_co_u32_e32 v14, vcc, v29, v14, vcc
	global_store_dwordx2 v[13:14], v[11:12], off
.LBB53_25:                              ;   in Loop: Header=BB53_7 Depth=1
	s_andn2_b64 vcc, exec, s[20:21]
	s_cbranch_vccnz .LBB53_6
; %bb.26:                               ;   in Loop: Header=BB53_7 Depth=1
	v_mul_lo_u32 v13, v10, s22
	v_mul_lo_u32 v14, v9, s23
	v_mad_u64_u32 v[9:10], s[20:21], v9, s22, 0
	v_add3_u32 v10, v10, v14, v13
	v_lshlrev_b64 v[9:10], 3, v[9:10]
	v_add_co_u32_e32 v9, vcc, v24, v9
	v_addc_co_u32_e32 v10, vcc, v25, v10, vcc
	global_store_dwordx2 v[9:10], v[11:12], off
	s_branch .LBB53_6
.LBB53_27:
	s_endpgm
	.section	.rodata,"a",@progbits
	.p2align	6, 0x0
	.amdhsa_kernel _ZN9rocsparseL29bsrmmnt_small_blockdim_kernelILj64ELj8ELj2Ell21rocsparse_complex_numIfES2_S2_S2_EEv20rocsparse_direction_T3_S4_llNS_24const_host_device_scalarIT7_EEPKT2_PKS4_PKT4_PKT5_llS7_PT6_ll16rocsparse_order_21rocsparse_index_base_b
		.amdhsa_group_segment_fixed_size 2048
		.amdhsa_private_segment_fixed_size 0
		.amdhsa_kernarg_size 400
		.amdhsa_user_sgpr_count 6
		.amdhsa_user_sgpr_private_segment_buffer 1
		.amdhsa_user_sgpr_dispatch_ptr 0
		.amdhsa_user_sgpr_queue_ptr 0
		.amdhsa_user_sgpr_kernarg_segment_ptr 1
		.amdhsa_user_sgpr_dispatch_id 0
		.amdhsa_user_sgpr_flat_scratch_init 0
		.amdhsa_user_sgpr_private_segment_size 0
		.amdhsa_uses_dynamic_stack 0
		.amdhsa_system_sgpr_private_segment_wavefront_offset 0
		.amdhsa_system_sgpr_workgroup_id_x 1
		.amdhsa_system_sgpr_workgroup_id_y 0
		.amdhsa_system_sgpr_workgroup_id_z 0
		.amdhsa_system_sgpr_workgroup_info 0
		.amdhsa_system_vgpr_workitem_id 0
		.amdhsa_next_free_vgpr 45
		.amdhsa_next_free_sgpr 61
		.amdhsa_reserve_vcc 1
		.amdhsa_reserve_flat_scratch 0
		.amdhsa_float_round_mode_32 0
		.amdhsa_float_round_mode_16_64 0
		.amdhsa_float_denorm_mode_32 3
		.amdhsa_float_denorm_mode_16_64 3
		.amdhsa_dx10_clamp 1
		.amdhsa_ieee_mode 1
		.amdhsa_fp16_overflow 0
		.amdhsa_exception_fp_ieee_invalid_op 0
		.amdhsa_exception_fp_denorm_src 0
		.amdhsa_exception_fp_ieee_div_zero 0
		.amdhsa_exception_fp_ieee_overflow 0
		.amdhsa_exception_fp_ieee_underflow 0
		.amdhsa_exception_fp_ieee_inexact 0
		.amdhsa_exception_int_div_zero 0
	.end_amdhsa_kernel
	.section	.text._ZN9rocsparseL29bsrmmnt_small_blockdim_kernelILj64ELj8ELj2Ell21rocsparse_complex_numIfES2_S2_S2_EEv20rocsparse_direction_T3_S4_llNS_24const_host_device_scalarIT7_EEPKT2_PKS4_PKT4_PKT5_llS7_PT6_ll16rocsparse_order_21rocsparse_index_base_b,"axG",@progbits,_ZN9rocsparseL29bsrmmnt_small_blockdim_kernelILj64ELj8ELj2Ell21rocsparse_complex_numIfES2_S2_S2_EEv20rocsparse_direction_T3_S4_llNS_24const_host_device_scalarIT7_EEPKT2_PKS4_PKT4_PKT5_llS7_PT6_ll16rocsparse_order_21rocsparse_index_base_b,comdat
.Lfunc_end53:
	.size	_ZN9rocsparseL29bsrmmnt_small_blockdim_kernelILj64ELj8ELj2Ell21rocsparse_complex_numIfES2_S2_S2_EEv20rocsparse_direction_T3_S4_llNS_24const_host_device_scalarIT7_EEPKT2_PKS4_PKT4_PKT5_llS7_PT6_ll16rocsparse_order_21rocsparse_index_base_b, .Lfunc_end53-_ZN9rocsparseL29bsrmmnt_small_blockdim_kernelILj64ELj8ELj2Ell21rocsparse_complex_numIfES2_S2_S2_EEv20rocsparse_direction_T3_S4_llNS_24const_host_device_scalarIT7_EEPKT2_PKS4_PKT4_PKT5_llS7_PT6_ll16rocsparse_order_21rocsparse_index_base_b
                                        ; -- End function
	.set _ZN9rocsparseL29bsrmmnt_small_blockdim_kernelILj64ELj8ELj2Ell21rocsparse_complex_numIfES2_S2_S2_EEv20rocsparse_direction_T3_S4_llNS_24const_host_device_scalarIT7_EEPKT2_PKS4_PKT4_PKT5_llS7_PT6_ll16rocsparse_order_21rocsparse_index_base_b.num_vgpr, 45
	.set _ZN9rocsparseL29bsrmmnt_small_blockdim_kernelILj64ELj8ELj2Ell21rocsparse_complex_numIfES2_S2_S2_EEv20rocsparse_direction_T3_S4_llNS_24const_host_device_scalarIT7_EEPKT2_PKS4_PKT4_PKT5_llS7_PT6_ll16rocsparse_order_21rocsparse_index_base_b.num_agpr, 0
	.set _ZN9rocsparseL29bsrmmnt_small_blockdim_kernelILj64ELj8ELj2Ell21rocsparse_complex_numIfES2_S2_S2_EEv20rocsparse_direction_T3_S4_llNS_24const_host_device_scalarIT7_EEPKT2_PKS4_PKT4_PKT5_llS7_PT6_ll16rocsparse_order_21rocsparse_index_base_b.numbered_sgpr, 32
	.set _ZN9rocsparseL29bsrmmnt_small_blockdim_kernelILj64ELj8ELj2Ell21rocsparse_complex_numIfES2_S2_S2_EEv20rocsparse_direction_T3_S4_llNS_24const_host_device_scalarIT7_EEPKT2_PKS4_PKT4_PKT5_llS7_PT6_ll16rocsparse_order_21rocsparse_index_base_b.num_named_barrier, 0
	.set _ZN9rocsparseL29bsrmmnt_small_blockdim_kernelILj64ELj8ELj2Ell21rocsparse_complex_numIfES2_S2_S2_EEv20rocsparse_direction_T3_S4_llNS_24const_host_device_scalarIT7_EEPKT2_PKS4_PKT4_PKT5_llS7_PT6_ll16rocsparse_order_21rocsparse_index_base_b.private_seg_size, 0
	.set _ZN9rocsparseL29bsrmmnt_small_blockdim_kernelILj64ELj8ELj2Ell21rocsparse_complex_numIfES2_S2_S2_EEv20rocsparse_direction_T3_S4_llNS_24const_host_device_scalarIT7_EEPKT2_PKS4_PKT4_PKT5_llS7_PT6_ll16rocsparse_order_21rocsparse_index_base_b.uses_vcc, 1
	.set _ZN9rocsparseL29bsrmmnt_small_blockdim_kernelILj64ELj8ELj2Ell21rocsparse_complex_numIfES2_S2_S2_EEv20rocsparse_direction_T3_S4_llNS_24const_host_device_scalarIT7_EEPKT2_PKS4_PKT4_PKT5_llS7_PT6_ll16rocsparse_order_21rocsparse_index_base_b.uses_flat_scratch, 0
	.set _ZN9rocsparseL29bsrmmnt_small_blockdim_kernelILj64ELj8ELj2Ell21rocsparse_complex_numIfES2_S2_S2_EEv20rocsparse_direction_T3_S4_llNS_24const_host_device_scalarIT7_EEPKT2_PKS4_PKT4_PKT5_llS7_PT6_ll16rocsparse_order_21rocsparse_index_base_b.has_dyn_sized_stack, 0
	.set _ZN9rocsparseL29bsrmmnt_small_blockdim_kernelILj64ELj8ELj2Ell21rocsparse_complex_numIfES2_S2_S2_EEv20rocsparse_direction_T3_S4_llNS_24const_host_device_scalarIT7_EEPKT2_PKS4_PKT4_PKT5_llS7_PT6_ll16rocsparse_order_21rocsparse_index_base_b.has_recursion, 0
	.set _ZN9rocsparseL29bsrmmnt_small_blockdim_kernelILj64ELj8ELj2Ell21rocsparse_complex_numIfES2_S2_S2_EEv20rocsparse_direction_T3_S4_llNS_24const_host_device_scalarIT7_EEPKT2_PKS4_PKT4_PKT5_llS7_PT6_ll16rocsparse_order_21rocsparse_index_base_b.has_indirect_call, 0
	.section	.AMDGPU.csdata,"",@progbits
; Kernel info:
; codeLenInByte = 1608
; TotalNumSgprs: 36
; NumVgprs: 45
; ScratchSize: 0
; MemoryBound: 0
; FloatMode: 240
; IeeeMode: 1
; LDSByteSize: 2048 bytes/workgroup (compile time only)
; SGPRBlocks: 8
; VGPRBlocks: 11
; NumSGPRsForWavesPerEU: 65
; NumVGPRsForWavesPerEU: 45
; Occupancy: 5
; WaveLimiterHint : 1
; COMPUTE_PGM_RSRC2:SCRATCH_EN: 0
; COMPUTE_PGM_RSRC2:USER_SGPR: 6
; COMPUTE_PGM_RSRC2:TRAP_HANDLER: 0
; COMPUTE_PGM_RSRC2:TGID_X_EN: 1
; COMPUTE_PGM_RSRC2:TGID_Y_EN: 0
; COMPUTE_PGM_RSRC2:TGID_Z_EN: 0
; COMPUTE_PGM_RSRC2:TIDIG_COMP_CNT: 0
	.section	.text._ZN9rocsparseL29bsrmmnt_small_blockdim_kernelILj64ELj16ELj2Ell21rocsparse_complex_numIfES2_S2_S2_EEv20rocsparse_direction_T3_S4_llNS_24const_host_device_scalarIT7_EEPKT2_PKS4_PKT4_PKT5_llS7_PT6_ll16rocsparse_order_21rocsparse_index_base_b,"axG",@progbits,_ZN9rocsparseL29bsrmmnt_small_blockdim_kernelILj64ELj16ELj2Ell21rocsparse_complex_numIfES2_S2_S2_EEv20rocsparse_direction_T3_S4_llNS_24const_host_device_scalarIT7_EEPKT2_PKS4_PKT4_PKT5_llS7_PT6_ll16rocsparse_order_21rocsparse_index_base_b,comdat
	.globl	_ZN9rocsparseL29bsrmmnt_small_blockdim_kernelILj64ELj16ELj2Ell21rocsparse_complex_numIfES2_S2_S2_EEv20rocsparse_direction_T3_S4_llNS_24const_host_device_scalarIT7_EEPKT2_PKS4_PKT4_PKT5_llS7_PT6_ll16rocsparse_order_21rocsparse_index_base_b ; -- Begin function _ZN9rocsparseL29bsrmmnt_small_blockdim_kernelILj64ELj16ELj2Ell21rocsparse_complex_numIfES2_S2_S2_EEv20rocsparse_direction_T3_S4_llNS_24const_host_device_scalarIT7_EEPKT2_PKS4_PKT4_PKT5_llS7_PT6_ll16rocsparse_order_21rocsparse_index_base_b
	.p2align	8
	.type	_ZN9rocsparseL29bsrmmnt_small_blockdim_kernelILj64ELj16ELj2Ell21rocsparse_complex_numIfES2_S2_S2_EEv20rocsparse_direction_T3_S4_llNS_24const_host_device_scalarIT7_EEPKT2_PKS4_PKT4_PKT5_llS7_PT6_ll16rocsparse_order_21rocsparse_index_base_b,@function
_ZN9rocsparseL29bsrmmnt_small_blockdim_kernelILj64ELj16ELj2Ell21rocsparse_complex_numIfES2_S2_S2_EEv20rocsparse_direction_T3_S4_llNS_24const_host_device_scalarIT7_EEPKT2_PKS4_PKT4_PKT5_llS7_PT6_ll16rocsparse_order_21rocsparse_index_base_b: ; @_ZN9rocsparseL29bsrmmnt_small_blockdim_kernelILj64ELj16ELj2Ell21rocsparse_complex_numIfES2_S2_S2_EEv20rocsparse_direction_T3_S4_llNS_24const_host_device_scalarIT7_EEPKT2_PKS4_PKT4_PKT5_llS7_PT6_ll16rocsparse_order_21rocsparse_index_base_b
; %bb.0:
	s_load_dwordx2 s[0:1], s[4:5], 0x28
	s_load_dwordx2 s[2:3], s[4:5], 0x60
	s_load_dwordx4 s[24:27], s[4:5], 0x80
	s_add_u32 s7, s4, 40
	s_addc_u32 s8, s5, 0
	s_add_u32 s9, s4, 0x60
	s_addc_u32 s10, s5, 0
	s_waitcnt lgkmcnt(0)
	s_bitcmp1_b32 s26, 0
	s_cselect_b32 s1, s8, s1
	s_cselect_b32 s0, s7, s0
	v_mov_b32_e32 v1, s0
	v_mov_b32_e32 v2, s1
	flat_load_dwordx2 v[1:2], v[1:2]
	s_cselect_b32 s0, s10, s3
	s_cselect_b32 s1, s9, s2
	v_mov_b32_e32 v3, s1
	v_mov_b32_e32 v4, s0
	flat_load_dwordx2 v[3:4], v[3:4]
	s_waitcnt vmcnt(0) lgkmcnt(0)
	v_cmp_eq_f32_e32 vcc, 0, v1
	v_cmp_eq_f32_e64 s[0:1], 0, v2
	s_and_b64 s[8:9], vcc, s[0:1]
	s_mov_b64 s[0:1], -1
	s_and_saveexec_b64 s[2:3], s[8:9]
; %bb.1:
	v_cmp_neq_f32_e32 vcc, 1.0, v3
	v_cmp_neq_f32_e64 s[0:1], 0, v4
	s_or_b64 s[0:1], vcc, s[0:1]
	s_orn2_b64 s[0:1], s[0:1], exec
; %bb.2:
	s_or_b64 exec, exec, s[2:3]
	s_and_saveexec_b64 s[2:3], s[0:1]
	s_cbranch_execz .LBB54_27
; %bb.3:
	s_load_dword s0, s[4:5], 0x9c
	s_load_dwordx4 s[16:19], s[4:5], 0x8
	v_mov_b32_e32 v6, 0
	s_waitcnt lgkmcnt(0)
	s_and_b32 s0, s0, 0xffff
	s_mul_i32 s6, s6, s0
	v_add_u32_e32 v7, s6, v0
	v_lshrrev_b32_e32 v5, 5, v7
	v_cmp_gt_i64_e32 vcc, s[16:17], v[5:6]
	s_and_b64 exec, exec, vcc
	s_cbranch_execz .LBB54_27
; %bb.4:
	v_cmp_lt_i64_e64 s[0:1], s[18:19], 1
	s_and_b64 vcc, exec, s[0:1]
	s_cbranch_vccnz .LBB54_27
; %bb.5:
	s_load_dwordx8 s[8:15], s[4:5], 0x30
	v_lshlrev_b32_e32 v5, 3, v5
	v_lshrrev_b32_e32 v7, 4, v7
	v_and_b32_e32 v21, 15, v0
	v_cmp_neq_f32_e32 vcc, 0, v3
	s_waitcnt lgkmcnt(0)
	global_load_dwordx4 v[9:12], v5, s[8:9]
	s_load_dword s2, s[4:5], 0x0
	s_load_dwordx4 s[20:23], s[4:5], 0x68
	s_load_dwordx2 s[6:7], s[4:5], 0x50
	v_lshrrev_b32_e32 v5, 4, v0
	v_mov_b32_e32 v0, 0x600
	v_cmp_neq_f32_e64 s[0:1], 0, v4
	v_lshl_or_b32 v0, v5, 7, v0
	s_or_b64 s[8:9], vcc, s[0:1]
	v_mul_u32_u24_e32 v22, 0x180, v5
	s_waitcnt lgkmcnt(0)
	v_mad_u64_u32 v[5:6], s[0:1], v7, s22, 0
	v_lshlrev_b32_e32 v8, 3, v7
	v_and_b32_e32 v14, 8, v8
	v_mov_b32_e32 v15, s13
	v_add_co_u32_e32 v18, vcc, s12, v14
	v_addc_co_u32_e32 v15, vcc, 0, v15, vcc
	v_mad_u64_u32 v[6:7], s[0:1], v7, s23, v[6:7]
	v_mov_b32_e32 v17, s21
	v_add_co_u32_e32 v24, vcc, s20, v8
	v_addc_co_u32_e32 v25, vcc, 0, v17, vcc
	s_cmp_lg_u32 s24, 1
	v_add_co_u32_e32 v8, vcc, v18, v14
	s_cselect_b64 s[16:17], -1, 0
	s_cmp_eq_u32 s2, 0
	v_addc_co_u32_e32 v14, vcc, 0, v15, vcc
	v_lshlrev_b64 v[5:6], 3, v[5:6]
	s_cselect_b64 vcc, -1, 0
	v_mov_b32_e32 v16, s21
	v_cndmask_b32_e32 v26, v15, v14, vcc
	v_cndmask_b32_e32 v27, v18, v8, vcc
	s_and_b64 s[0:1], vcc, exec
	v_add_co_u32_e32 v28, vcc, s20, v5
	v_addc_co_u32_e32 v29, vcc, v16, v6, vcc
	v_mul_u32_u24_e32 v13, 24, v21
	s_mov_b32 s28, s25
	s_mov_b64 s[4:5], 0
	v_lshl_or_b32 v23, v21, 3, v0
	s_cselect_b32 s29, 8, 16
	s_cselect_b32 s30, 12, 20
	v_add_u32_e32 v30, v22, v13
	s_lshl_b64 s[12:13], s[6:7], 3
	s_waitcnt vmcnt(0)
	v_subrev_co_u32_e32 v5, vcc, s25, v9
	v_subbrev_co_u32_e32 v6, vcc, 0, v10, vcc
	v_subrev_co_u32_e32 v7, vcc, s25, v11
	v_cmp_lt_i64_e64 s[0:1], v[9:10], v[11:12]
	v_subbrev_co_u32_e32 v8, vcc, 0, v12, vcc
	s_branch .LBB54_7
.LBB54_6:                               ;   in Loop: Header=BB54_7 Depth=1
	s_or_b64 exec, exec, s[2:3]
	s_add_u32 s4, s4, 16
	v_mov_b32_e32 v9, s18
	s_addc_u32 s5, s5, 0
	v_mov_b32_e32 v10, s19
	v_cmp_lt_i64_e32 vcc, s[4:5], v[9:10]
	s_cbranch_vccz .LBB54_27
.LBB54_7:                               ; =>This Loop Header: Depth=1
                                        ;     Child Loop BB54_10 Depth 2
                                        ;       Child Loop BB54_14 Depth 3
	v_mov_b32_e32 v10, s5
	v_or_b32_e32 v9, s4, v21
	v_mov_b32_e32 v31, 0
	v_mov_b32_e32 v32, 0
	s_and_saveexec_b64 s[20:21], s[0:1]
	s_cbranch_execz .LBB54_16
; %bb.8:                                ;   in Loop: Header=BB54_7 Depth=1
	v_lshlrev_b64 v[11:12], 3, v[9:10]
	v_mov_b32_e32 v13, s15
	v_add_co_u32_e64 v33, s[2:3], s14, v11
	v_cmp_gt_i64_e32 vcc, s[18:19], v[9:10]
	v_addc_co_u32_e64 v34, s[2:3], v13, v12, s[2:3]
	v_mov_b32_e32 v12, v6
	v_mov_b32_e32 v31, 0
	s_mov_b64 s[24:25], 0
	v_mov_b32_e32 v11, v5
	v_mov_b32_e32 v32, 0
	s_branch .LBB54_10
.LBB54_9:                               ;   in Loop: Header=BB54_10 Depth=2
	s_or_b64 exec, exec, s[26:27]
	v_add_co_u32_e64 v11, s[2:3], 16, v11
	v_addc_co_u32_e64 v12, s[2:3], 0, v12, s[2:3]
	v_cmp_ge_i64_e64 s[2:3], v[11:12], v[7:8]
	s_or_b64 s[24:25], s[2:3], s[24:25]
	s_andn2_b64 exec, exec, s[24:25]
	s_cbranch_execz .LBB54_15
.LBB54_10:                              ;   Parent Loop BB54_7 Depth=1
                                        ; =>  This Loop Header: Depth=2
                                        ;       Child Loop BB54_14 Depth 3
	v_add_co_u32_e64 v17, s[2:3], v11, v21
	v_addc_co_u32_e64 v18, s[2:3], 0, v12, s[2:3]
	v_cmp_lt_i64_e64 s[2:3], v[17:18], v[7:8]
	v_mov_b32_e32 v19, 0
	v_mov_b32_e32 v20, 0
	v_mov_b32_e32 v13, 0
	v_mov_b32_e32 v14, 0
	v_mov_b32_e32 v15, 0
	v_mov_b32_e32 v16, 0
	s_and_saveexec_b64 s[26:27], s[2:3]
	s_cbranch_execz .LBB54_12
; %bb.11:                               ;   in Loop: Header=BB54_10 Depth=2
	v_lshlrev_b64 v[13:14], 3, v[17:18]
	v_mov_b32_e32 v15, s11
	v_add_co_u32_e64 v13, s[2:3], s10, v13
	v_addc_co_u32_e64 v14, s[2:3], v15, v14, s[2:3]
	global_load_dwordx2 v[19:20], v[13:14], off
	v_lshlrev_b64 v[13:14], 5, v[17:18]
	v_add_co_u32_e64 v17, s[2:3], v27, v13
	v_addc_co_u32_e64 v18, s[2:3], v26, v14, s[2:3]
	v_add_co_u32_e64 v35, s[2:3], s29, v17
	v_addc_co_u32_e64 v36, s[2:3], 0, v18, s[2:3]
	;; [unrolled: 2-line block ×3, first 2 shown]
	global_load_dwordx2 v[13:14], v[17:18], off
	global_load_dword v15, v[35:36], off
	global_load_dword v16, v[37:38], off
	s_waitcnt vmcnt(3)
	v_subrev_co_u32_e64 v17, s[2:3], s28, v19
	v_subbrev_co_u32_e64 v18, s[2:3], 0, v20, s[2:3]
	v_lshlrev_b64 v[19:20], 1, v[17:18]
.LBB54_12:                              ;   in Loop: Header=BB54_10 Depth=2
	s_or_b64 exec, exec, s[26:27]
	ds_write_b64 v23, v[19:20]
	s_waitcnt vmcnt(0)
	ds_write2_b64 v30, v[13:14], v[15:16] offset1:1
	s_waitcnt lgkmcnt(0)
	; wave barrier
	s_and_saveexec_b64 s[26:27], vcc
	s_cbranch_execz .LBB54_9
; %bb.13:                               ;   in Loop: Header=BB54_10 Depth=2
	s_mov_b32 s31, 0
	v_mov_b32_e32 v13, v22
.LBB54_14:                              ;   Parent Loop BB54_7 Depth=1
                                        ;     Parent Loop BB54_10 Depth=2
                                        ; =>    This Inner Loop Header: Depth=3
	v_add_u32_e32 v14, s31, v0
	ds_read_b128 v[14:17], v14
	v_mov_b32_e32 v20, s13
	s_add_i32 s31, s31, 16
	s_cmpk_lg_i32 s31, 0x80
	s_waitcnt lgkmcnt(0)
	v_mul_lo_u32 v18, v15, s6
	v_mul_lo_u32 v19, v14, s7
	v_mad_u64_u32 v[14:15], s[2:3], v14, s6, 0
	v_mul_lo_u32 v35, v17, s6
	v_mul_lo_u32 v36, v16, s7
	v_mad_u64_u32 v[16:17], s[2:3], v16, s6, 0
	v_add3_u32 v15, v15, v19, v18
	v_lshlrev_b64 v[14:15], 3, v[14:15]
	v_add3_u32 v17, v17, v36, v35
	v_lshlrev_b64 v[16:17], 3, v[16:17]
	v_add_co_u32_e64 v14, s[2:3], v33, v14
	v_addc_co_u32_e64 v15, s[2:3], v34, v15, s[2:3]
	v_add_co_u32_e64 v16, s[2:3], v33, v16
	v_addc_co_u32_e64 v17, s[2:3], v34, v17, s[2:3]
	global_load_dwordx2 v[18:19], v[14:15], off
	v_add_co_u32_e64 v14, s[2:3], s12, v14
	v_addc_co_u32_e64 v15, s[2:3], v15, v20, s[2:3]
	v_add_co_u32_e64 v35, s[2:3], s12, v16
	v_addc_co_u32_e64 v36, s[2:3], v17, v20, s[2:3]
	global_load_dwordx2 v[39:40], v[14:15], off
	global_load_dwordx2 v[41:42], v[16:17], off
	;; [unrolled: 1-line block ×3, first 2 shown]
	ds_read_b128 v[14:17], v13
	ds_read2_b64 v[35:38], v13 offset0:3 offset1:4
	v_add_u32_e32 v13, 48, v13
	s_waitcnt vmcnt(3) lgkmcnt(1)
	v_fmac_f32_e32 v32, v14, v18
	v_fmac_f32_e32 v31, v15, v18
	v_fma_f32 v15, -v15, v19, v32
	v_fmac_f32_e32 v31, v14, v19
	s_waitcnt vmcnt(2)
	v_fmac_f32_e32 v15, v16, v39
	v_fmac_f32_e32 v31, v17, v39
	v_fma_f32 v14, -v17, v40, v15
	v_fmac_f32_e32 v31, v16, v40
	s_waitcnt vmcnt(1) lgkmcnt(0)
	v_fmac_f32_e32 v14, v35, v41
	v_fmac_f32_e32 v31, v36, v41
	v_fma_f32 v14, -v36, v42, v14
	v_fmac_f32_e32 v31, v35, v42
	s_waitcnt vmcnt(0)
	v_fmac_f32_e32 v14, v37, v43
	v_fmac_f32_e32 v31, v38, v43
	v_fma_f32 v32, -v38, v44, v14
	v_fmac_f32_e32 v31, v37, v44
	s_cbranch_scc1 .LBB54_14
	s_branch .LBB54_9
.LBB54_15:                              ;   in Loop: Header=BB54_7 Depth=1
	s_or_b64 exec, exec, s[24:25]
.LBB54_16:                              ;   in Loop: Header=BB54_7 Depth=1
	s_or_b64 exec, exec, s[20:21]
	v_cmp_gt_i64_e32 vcc, s[18:19], v[9:10]
	s_and_saveexec_b64 s[2:3], vcc
	s_cbranch_execz .LBB54_6
; %bb.17:                               ;   in Loop: Header=BB54_7 Depth=1
	s_and_saveexec_b64 s[20:21], s[8:9]
	s_xor_b64 s[20:21], exec, s[20:21]
	s_cbranch_execz .LBB54_22
; %bb.18:                               ;   in Loop: Header=BB54_7 Depth=1
	s_mov_b64 s[24:25], -1
	s_and_b64 vcc, exec, s[16:17]
	s_cbranch_vccz .LBB54_20
; %bb.19:                               ;   in Loop: Header=BB54_7 Depth=1
	v_lshlrev_b64 v[11:12], 3, v[9:10]
	v_mul_f32_e64 v15, v31, -v2
	v_add_co_u32_e32 v11, vcc, v28, v11
	v_addc_co_u32_e32 v12, vcc, v29, v12, vcc
	global_load_dwordx2 v[13:14], v[11:12], off
	v_mul_f32_e32 v16, v1, v31
	v_fmac_f32_e32 v15, v1, v32
	v_fmac_f32_e32 v16, v2, v32
	s_mov_b64 s[24:25], 0
	s_waitcnt vmcnt(0)
	v_fmac_f32_e32 v15, v3, v13
	v_fmac_f32_e32 v16, v4, v13
	v_fma_f32 v15, -v4, v14, v15
	v_fmac_f32_e32 v16, v3, v14
	global_store_dwordx2 v[11:12], v[15:16], off
.LBB54_20:                              ;   in Loop: Header=BB54_7 Depth=1
	s_andn2_b64 vcc, exec, s[24:25]
	s_cbranch_vccnz .LBB54_22
; %bb.21:                               ;   in Loop: Header=BB54_7 Depth=1
	v_mul_lo_u32 v11, v10, s22
	v_mul_lo_u32 v12, v9, s23
	v_mad_u64_u32 v[9:10], s[24:25], v9, s22, 0
	v_mul_f32_e64 v13, v31, -v2
	v_mul_f32_e32 v14, v1, v31
	v_add3_u32 v10, v10, v12, v11
	v_lshlrev_b64 v[9:10], 3, v[9:10]
	v_fmac_f32_e32 v13, v1, v32
	v_add_co_u32_e32 v9, vcc, v24, v9
	v_addc_co_u32_e32 v10, vcc, v25, v10, vcc
	global_load_dwordx2 v[11:12], v[9:10], off
	v_fmac_f32_e32 v14, v2, v32
                                        ; implicit-def: $vgpr31
                                        ; implicit-def: $vgpr32
	s_waitcnt vmcnt(0)
	v_fmac_f32_e32 v13, v3, v11
	v_fmac_f32_e32 v14, v4, v11
	v_fma_f32 v13, -v4, v12, v13
	v_fmac_f32_e32 v14, v3, v12
	global_store_dwordx2 v[9:10], v[13:14], off
                                        ; implicit-def: $vgpr9_vgpr10
.LBB54_22:                              ;   in Loop: Header=BB54_7 Depth=1
	s_andn2_saveexec_b64 s[20:21], s[20:21]
	s_cbranch_execz .LBB54_6
; %bb.23:                               ;   in Loop: Header=BB54_7 Depth=1
	v_mul_f32_e64 v11, v31, -v2
	v_mul_f32_e32 v12, v1, v31
	v_fmac_f32_e32 v11, v1, v32
	v_fmac_f32_e32 v12, v2, v32
	s_mov_b64 s[20:21], -1
	s_and_b64 vcc, exec, s[16:17]
	s_cbranch_vccz .LBB54_25
; %bb.24:                               ;   in Loop: Header=BB54_7 Depth=1
	v_lshlrev_b64 v[13:14], 3, v[9:10]
	s_mov_b64 s[20:21], 0
	v_add_co_u32_e32 v13, vcc, v28, v13
	v_addc_co_u32_e32 v14, vcc, v29, v14, vcc
	global_store_dwordx2 v[13:14], v[11:12], off
.LBB54_25:                              ;   in Loop: Header=BB54_7 Depth=1
	s_andn2_b64 vcc, exec, s[20:21]
	s_cbranch_vccnz .LBB54_6
; %bb.26:                               ;   in Loop: Header=BB54_7 Depth=1
	v_mul_lo_u32 v13, v10, s22
	v_mul_lo_u32 v14, v9, s23
	v_mad_u64_u32 v[9:10], s[20:21], v9, s22, 0
	v_add3_u32 v10, v10, v14, v13
	v_lshlrev_b64 v[9:10], 3, v[9:10]
	v_add_co_u32_e32 v9, vcc, v24, v9
	v_addc_co_u32_e32 v10, vcc, v25, v10, vcc
	global_store_dwordx2 v[9:10], v[11:12], off
	s_branch .LBB54_6
.LBB54_27:
	s_endpgm
	.section	.rodata,"a",@progbits
	.p2align	6, 0x0
	.amdhsa_kernel _ZN9rocsparseL29bsrmmnt_small_blockdim_kernelILj64ELj16ELj2Ell21rocsparse_complex_numIfES2_S2_S2_EEv20rocsparse_direction_T3_S4_llNS_24const_host_device_scalarIT7_EEPKT2_PKS4_PKT4_PKT5_llS7_PT6_ll16rocsparse_order_21rocsparse_index_base_b
		.amdhsa_group_segment_fixed_size 2048
		.amdhsa_private_segment_fixed_size 0
		.amdhsa_kernarg_size 400
		.amdhsa_user_sgpr_count 6
		.amdhsa_user_sgpr_private_segment_buffer 1
		.amdhsa_user_sgpr_dispatch_ptr 0
		.amdhsa_user_sgpr_queue_ptr 0
		.amdhsa_user_sgpr_kernarg_segment_ptr 1
		.amdhsa_user_sgpr_dispatch_id 0
		.amdhsa_user_sgpr_flat_scratch_init 0
		.amdhsa_user_sgpr_private_segment_size 0
		.amdhsa_uses_dynamic_stack 0
		.amdhsa_system_sgpr_private_segment_wavefront_offset 0
		.amdhsa_system_sgpr_workgroup_id_x 1
		.amdhsa_system_sgpr_workgroup_id_y 0
		.amdhsa_system_sgpr_workgroup_id_z 0
		.amdhsa_system_sgpr_workgroup_info 0
		.amdhsa_system_vgpr_workitem_id 0
		.amdhsa_next_free_vgpr 45
		.amdhsa_next_free_sgpr 61
		.amdhsa_reserve_vcc 1
		.amdhsa_reserve_flat_scratch 0
		.amdhsa_float_round_mode_32 0
		.amdhsa_float_round_mode_16_64 0
		.amdhsa_float_denorm_mode_32 3
		.amdhsa_float_denorm_mode_16_64 3
		.amdhsa_dx10_clamp 1
		.amdhsa_ieee_mode 1
		.amdhsa_fp16_overflow 0
		.amdhsa_exception_fp_ieee_invalid_op 0
		.amdhsa_exception_fp_denorm_src 0
		.amdhsa_exception_fp_ieee_div_zero 0
		.amdhsa_exception_fp_ieee_overflow 0
		.amdhsa_exception_fp_ieee_underflow 0
		.amdhsa_exception_fp_ieee_inexact 0
		.amdhsa_exception_int_div_zero 0
	.end_amdhsa_kernel
	.section	.text._ZN9rocsparseL29bsrmmnt_small_blockdim_kernelILj64ELj16ELj2Ell21rocsparse_complex_numIfES2_S2_S2_EEv20rocsparse_direction_T3_S4_llNS_24const_host_device_scalarIT7_EEPKT2_PKS4_PKT4_PKT5_llS7_PT6_ll16rocsparse_order_21rocsparse_index_base_b,"axG",@progbits,_ZN9rocsparseL29bsrmmnt_small_blockdim_kernelILj64ELj16ELj2Ell21rocsparse_complex_numIfES2_S2_S2_EEv20rocsparse_direction_T3_S4_llNS_24const_host_device_scalarIT7_EEPKT2_PKS4_PKT4_PKT5_llS7_PT6_ll16rocsparse_order_21rocsparse_index_base_b,comdat
.Lfunc_end54:
	.size	_ZN9rocsparseL29bsrmmnt_small_blockdim_kernelILj64ELj16ELj2Ell21rocsparse_complex_numIfES2_S2_S2_EEv20rocsparse_direction_T3_S4_llNS_24const_host_device_scalarIT7_EEPKT2_PKS4_PKT4_PKT5_llS7_PT6_ll16rocsparse_order_21rocsparse_index_base_b, .Lfunc_end54-_ZN9rocsparseL29bsrmmnt_small_blockdim_kernelILj64ELj16ELj2Ell21rocsparse_complex_numIfES2_S2_S2_EEv20rocsparse_direction_T3_S4_llNS_24const_host_device_scalarIT7_EEPKT2_PKS4_PKT4_PKT5_llS7_PT6_ll16rocsparse_order_21rocsparse_index_base_b
                                        ; -- End function
	.set _ZN9rocsparseL29bsrmmnt_small_blockdim_kernelILj64ELj16ELj2Ell21rocsparse_complex_numIfES2_S2_S2_EEv20rocsparse_direction_T3_S4_llNS_24const_host_device_scalarIT7_EEPKT2_PKS4_PKT4_PKT5_llS7_PT6_ll16rocsparse_order_21rocsparse_index_base_b.num_vgpr, 45
	.set _ZN9rocsparseL29bsrmmnt_small_blockdim_kernelILj64ELj16ELj2Ell21rocsparse_complex_numIfES2_S2_S2_EEv20rocsparse_direction_T3_S4_llNS_24const_host_device_scalarIT7_EEPKT2_PKS4_PKT4_PKT5_llS7_PT6_ll16rocsparse_order_21rocsparse_index_base_b.num_agpr, 0
	.set _ZN9rocsparseL29bsrmmnt_small_blockdim_kernelILj64ELj16ELj2Ell21rocsparse_complex_numIfES2_S2_S2_EEv20rocsparse_direction_T3_S4_llNS_24const_host_device_scalarIT7_EEPKT2_PKS4_PKT4_PKT5_llS7_PT6_ll16rocsparse_order_21rocsparse_index_base_b.numbered_sgpr, 32
	.set _ZN9rocsparseL29bsrmmnt_small_blockdim_kernelILj64ELj16ELj2Ell21rocsparse_complex_numIfES2_S2_S2_EEv20rocsparse_direction_T3_S4_llNS_24const_host_device_scalarIT7_EEPKT2_PKS4_PKT4_PKT5_llS7_PT6_ll16rocsparse_order_21rocsparse_index_base_b.num_named_barrier, 0
	.set _ZN9rocsparseL29bsrmmnt_small_blockdim_kernelILj64ELj16ELj2Ell21rocsparse_complex_numIfES2_S2_S2_EEv20rocsparse_direction_T3_S4_llNS_24const_host_device_scalarIT7_EEPKT2_PKS4_PKT4_PKT5_llS7_PT6_ll16rocsparse_order_21rocsparse_index_base_b.private_seg_size, 0
	.set _ZN9rocsparseL29bsrmmnt_small_blockdim_kernelILj64ELj16ELj2Ell21rocsparse_complex_numIfES2_S2_S2_EEv20rocsparse_direction_T3_S4_llNS_24const_host_device_scalarIT7_EEPKT2_PKS4_PKT4_PKT5_llS7_PT6_ll16rocsparse_order_21rocsparse_index_base_b.uses_vcc, 1
	.set _ZN9rocsparseL29bsrmmnt_small_blockdim_kernelILj64ELj16ELj2Ell21rocsparse_complex_numIfES2_S2_S2_EEv20rocsparse_direction_T3_S4_llNS_24const_host_device_scalarIT7_EEPKT2_PKS4_PKT4_PKT5_llS7_PT6_ll16rocsparse_order_21rocsparse_index_base_b.uses_flat_scratch, 0
	.set _ZN9rocsparseL29bsrmmnt_small_blockdim_kernelILj64ELj16ELj2Ell21rocsparse_complex_numIfES2_S2_S2_EEv20rocsparse_direction_T3_S4_llNS_24const_host_device_scalarIT7_EEPKT2_PKS4_PKT4_PKT5_llS7_PT6_ll16rocsparse_order_21rocsparse_index_base_b.has_dyn_sized_stack, 0
	.set _ZN9rocsparseL29bsrmmnt_small_blockdim_kernelILj64ELj16ELj2Ell21rocsparse_complex_numIfES2_S2_S2_EEv20rocsparse_direction_T3_S4_llNS_24const_host_device_scalarIT7_EEPKT2_PKS4_PKT4_PKT5_llS7_PT6_ll16rocsparse_order_21rocsparse_index_base_b.has_recursion, 0
	.set _ZN9rocsparseL29bsrmmnt_small_blockdim_kernelILj64ELj16ELj2Ell21rocsparse_complex_numIfES2_S2_S2_EEv20rocsparse_direction_T3_S4_llNS_24const_host_device_scalarIT7_EEPKT2_PKS4_PKT4_PKT5_llS7_PT6_ll16rocsparse_order_21rocsparse_index_base_b.has_indirect_call, 0
	.section	.AMDGPU.csdata,"",@progbits
; Kernel info:
; codeLenInByte = 1608
; TotalNumSgprs: 36
; NumVgprs: 45
; ScratchSize: 0
; MemoryBound: 0
; FloatMode: 240
; IeeeMode: 1
; LDSByteSize: 2048 bytes/workgroup (compile time only)
; SGPRBlocks: 8
; VGPRBlocks: 11
; NumSGPRsForWavesPerEU: 65
; NumVGPRsForWavesPerEU: 45
; Occupancy: 5
; WaveLimiterHint : 1
; COMPUTE_PGM_RSRC2:SCRATCH_EN: 0
; COMPUTE_PGM_RSRC2:USER_SGPR: 6
; COMPUTE_PGM_RSRC2:TRAP_HANDLER: 0
; COMPUTE_PGM_RSRC2:TGID_X_EN: 1
; COMPUTE_PGM_RSRC2:TGID_Y_EN: 0
; COMPUTE_PGM_RSRC2:TGID_Z_EN: 0
; COMPUTE_PGM_RSRC2:TIDIG_COMP_CNT: 0
	.section	.text._ZN9rocsparseL29bsrmmnt_small_blockdim_kernelILj64ELj32ELj2Ell21rocsparse_complex_numIfES2_S2_S2_EEv20rocsparse_direction_T3_S4_llNS_24const_host_device_scalarIT7_EEPKT2_PKS4_PKT4_PKT5_llS7_PT6_ll16rocsparse_order_21rocsparse_index_base_b,"axG",@progbits,_ZN9rocsparseL29bsrmmnt_small_blockdim_kernelILj64ELj32ELj2Ell21rocsparse_complex_numIfES2_S2_S2_EEv20rocsparse_direction_T3_S4_llNS_24const_host_device_scalarIT7_EEPKT2_PKS4_PKT4_PKT5_llS7_PT6_ll16rocsparse_order_21rocsparse_index_base_b,comdat
	.globl	_ZN9rocsparseL29bsrmmnt_small_blockdim_kernelILj64ELj32ELj2Ell21rocsparse_complex_numIfES2_S2_S2_EEv20rocsparse_direction_T3_S4_llNS_24const_host_device_scalarIT7_EEPKT2_PKS4_PKT4_PKT5_llS7_PT6_ll16rocsparse_order_21rocsparse_index_base_b ; -- Begin function _ZN9rocsparseL29bsrmmnt_small_blockdim_kernelILj64ELj32ELj2Ell21rocsparse_complex_numIfES2_S2_S2_EEv20rocsparse_direction_T3_S4_llNS_24const_host_device_scalarIT7_EEPKT2_PKS4_PKT4_PKT5_llS7_PT6_ll16rocsparse_order_21rocsparse_index_base_b
	.p2align	8
	.type	_ZN9rocsparseL29bsrmmnt_small_blockdim_kernelILj64ELj32ELj2Ell21rocsparse_complex_numIfES2_S2_S2_EEv20rocsparse_direction_T3_S4_llNS_24const_host_device_scalarIT7_EEPKT2_PKS4_PKT4_PKT5_llS7_PT6_ll16rocsparse_order_21rocsparse_index_base_b,@function
_ZN9rocsparseL29bsrmmnt_small_blockdim_kernelILj64ELj32ELj2Ell21rocsparse_complex_numIfES2_S2_S2_EEv20rocsparse_direction_T3_S4_llNS_24const_host_device_scalarIT7_EEPKT2_PKS4_PKT4_PKT5_llS7_PT6_ll16rocsparse_order_21rocsparse_index_base_b: ; @_ZN9rocsparseL29bsrmmnt_small_blockdim_kernelILj64ELj32ELj2Ell21rocsparse_complex_numIfES2_S2_S2_EEv20rocsparse_direction_T3_S4_llNS_24const_host_device_scalarIT7_EEPKT2_PKS4_PKT4_PKT5_llS7_PT6_ll16rocsparse_order_21rocsparse_index_base_b
; %bb.0:
	s_load_dwordx2 s[0:1], s[4:5], 0x28
	s_load_dwordx2 s[2:3], s[4:5], 0x60
	s_load_dwordx4 s[24:27], s[4:5], 0x80
	s_add_u32 s7, s4, 40
	s_addc_u32 s8, s5, 0
	s_add_u32 s9, s4, 0x60
	s_addc_u32 s10, s5, 0
	s_waitcnt lgkmcnt(0)
	s_bitcmp1_b32 s26, 0
	s_cselect_b32 s1, s8, s1
	s_cselect_b32 s0, s7, s0
	v_mov_b32_e32 v1, s0
	v_mov_b32_e32 v2, s1
	flat_load_dwordx2 v[1:2], v[1:2]
	s_cselect_b32 s0, s10, s3
	s_cselect_b32 s1, s9, s2
	v_mov_b32_e32 v3, s1
	v_mov_b32_e32 v4, s0
	flat_load_dwordx2 v[3:4], v[3:4]
	s_waitcnt vmcnt(0) lgkmcnt(0)
	v_cmp_eq_f32_e32 vcc, 0, v1
	v_cmp_eq_f32_e64 s[0:1], 0, v2
	s_and_b64 s[8:9], vcc, s[0:1]
	s_mov_b64 s[0:1], -1
	s_and_saveexec_b64 s[2:3], s[8:9]
; %bb.1:
	v_cmp_neq_f32_e32 vcc, 1.0, v3
	v_cmp_neq_f32_e64 s[0:1], 0, v4
	s_or_b64 s[0:1], vcc, s[0:1]
	s_orn2_b64 s[0:1], s[0:1], exec
; %bb.2:
	s_or_b64 exec, exec, s[2:3]
	s_and_saveexec_b64 s[2:3], s[0:1]
	s_cbranch_execz .LBB55_27
; %bb.3:
	s_load_dword s0, s[4:5], 0x9c
	s_load_dwordx4 s[16:19], s[4:5], 0x8
	v_mov_b32_e32 v6, 0
	s_waitcnt lgkmcnt(0)
	s_and_b32 s0, s0, 0xffff
	s_mul_i32 s6, s6, s0
	v_add_u32_e32 v7, s6, v0
	v_lshrrev_b32_e32 v5, 6, v7
	v_cmp_gt_i64_e32 vcc, s[16:17], v[5:6]
	s_and_b64 exec, exec, vcc
	s_cbranch_execz .LBB55_27
; %bb.4:
	v_cmp_lt_i64_e64 s[0:1], s[18:19], 1
	s_and_b64 vcc, exec, s[0:1]
	s_cbranch_vccnz .LBB55_27
; %bb.5:
	s_load_dwordx8 s[8:15], s[4:5], 0x30
	v_lshlrev_b32_e32 v5, 3, v5
	v_lshrrev_b32_e32 v7, 5, v7
	v_and_b32_e32 v21, 31, v0
	v_cmp_neq_f32_e32 vcc, 0, v3
	s_waitcnt lgkmcnt(0)
	global_load_dwordx4 v[9:12], v5, s[8:9]
	s_load_dword s2, s[4:5], 0x0
	s_load_dwordx4 s[20:23], s[4:5], 0x68
	s_load_dwordx2 s[6:7], s[4:5], 0x50
	v_lshrrev_b32_e32 v5, 5, v0
	v_mov_b32_e32 v0, 0x600
	v_cmp_neq_f32_e64 s[0:1], 0, v4
	v_lshl_or_b32 v0, v5, 8, v0
	s_or_b64 s[8:9], vcc, s[0:1]
	v_mul_u32_u24_e32 v22, 0x300, v5
	s_waitcnt lgkmcnt(0)
	v_mad_u64_u32 v[5:6], s[0:1], v7, s22, 0
	v_lshlrev_b32_e32 v8, 3, v7
	v_and_b32_e32 v14, 8, v8
	v_mov_b32_e32 v15, s13
	v_add_co_u32_e32 v18, vcc, s12, v14
	v_addc_co_u32_e32 v15, vcc, 0, v15, vcc
	v_mad_u64_u32 v[6:7], s[0:1], v7, s23, v[6:7]
	v_mov_b32_e32 v17, s21
	v_add_co_u32_e32 v24, vcc, s20, v8
	v_addc_co_u32_e32 v25, vcc, 0, v17, vcc
	s_cmp_lg_u32 s24, 1
	v_add_co_u32_e32 v8, vcc, v18, v14
	s_cselect_b64 s[16:17], -1, 0
	s_cmp_eq_u32 s2, 0
	v_addc_co_u32_e32 v14, vcc, 0, v15, vcc
	v_lshlrev_b64 v[5:6], 3, v[5:6]
	s_cselect_b64 vcc, -1, 0
	v_mov_b32_e32 v16, s21
	v_cndmask_b32_e32 v26, v15, v14, vcc
	v_cndmask_b32_e32 v27, v18, v8, vcc
	s_and_b64 s[0:1], vcc, exec
	v_add_co_u32_e32 v28, vcc, s20, v5
	v_addc_co_u32_e32 v29, vcc, v16, v6, vcc
	v_mul_u32_u24_e32 v13, 24, v21
	s_mov_b32 s28, s25
	s_mov_b64 s[4:5], 0
	v_lshl_or_b32 v23, v21, 3, v0
	s_cselect_b32 s29, 8, 16
	s_cselect_b32 s30, 12, 20
	v_add_u32_e32 v30, v22, v13
	s_lshl_b64 s[12:13], s[6:7], 3
	s_waitcnt vmcnt(0)
	v_subrev_co_u32_e32 v5, vcc, s25, v9
	v_subbrev_co_u32_e32 v6, vcc, 0, v10, vcc
	v_subrev_co_u32_e32 v7, vcc, s25, v11
	v_cmp_lt_i64_e64 s[0:1], v[9:10], v[11:12]
	v_subbrev_co_u32_e32 v8, vcc, 0, v12, vcc
	s_branch .LBB55_7
.LBB55_6:                               ;   in Loop: Header=BB55_7 Depth=1
	s_or_b64 exec, exec, s[2:3]
	s_add_u32 s4, s4, 32
	v_mov_b32_e32 v9, s18
	s_addc_u32 s5, s5, 0
	v_mov_b32_e32 v10, s19
	v_cmp_lt_i64_e32 vcc, s[4:5], v[9:10]
	s_cbranch_vccz .LBB55_27
.LBB55_7:                               ; =>This Loop Header: Depth=1
                                        ;     Child Loop BB55_10 Depth 2
                                        ;       Child Loop BB55_14 Depth 3
	v_mov_b32_e32 v10, s5
	v_or_b32_e32 v9, s4, v21
	v_mov_b32_e32 v31, 0
	v_mov_b32_e32 v32, 0
	s_and_saveexec_b64 s[20:21], s[0:1]
	s_cbranch_execz .LBB55_16
; %bb.8:                                ;   in Loop: Header=BB55_7 Depth=1
	v_lshlrev_b64 v[11:12], 3, v[9:10]
	v_mov_b32_e32 v13, s15
	v_add_co_u32_e64 v33, s[2:3], s14, v11
	v_cmp_gt_i64_e32 vcc, s[18:19], v[9:10]
	v_addc_co_u32_e64 v34, s[2:3], v13, v12, s[2:3]
	v_mov_b32_e32 v12, v6
	v_mov_b32_e32 v31, 0
	s_mov_b64 s[24:25], 0
	v_mov_b32_e32 v11, v5
	v_mov_b32_e32 v32, 0
	s_branch .LBB55_10
.LBB55_9:                               ;   in Loop: Header=BB55_10 Depth=2
	s_or_b64 exec, exec, s[26:27]
	v_add_co_u32_e64 v11, s[2:3], 32, v11
	v_addc_co_u32_e64 v12, s[2:3], 0, v12, s[2:3]
	v_cmp_ge_i64_e64 s[2:3], v[11:12], v[7:8]
	s_or_b64 s[24:25], s[2:3], s[24:25]
	s_andn2_b64 exec, exec, s[24:25]
	s_cbranch_execz .LBB55_15
.LBB55_10:                              ;   Parent Loop BB55_7 Depth=1
                                        ; =>  This Loop Header: Depth=2
                                        ;       Child Loop BB55_14 Depth 3
	v_add_co_u32_e64 v17, s[2:3], v11, v21
	v_addc_co_u32_e64 v18, s[2:3], 0, v12, s[2:3]
	v_cmp_lt_i64_e64 s[2:3], v[17:18], v[7:8]
	v_mov_b32_e32 v19, 0
	v_mov_b32_e32 v20, 0
	;; [unrolled: 1-line block ×6, first 2 shown]
	s_and_saveexec_b64 s[26:27], s[2:3]
	s_cbranch_execz .LBB55_12
; %bb.11:                               ;   in Loop: Header=BB55_10 Depth=2
	v_lshlrev_b64 v[13:14], 3, v[17:18]
	v_mov_b32_e32 v15, s11
	v_add_co_u32_e64 v13, s[2:3], s10, v13
	v_addc_co_u32_e64 v14, s[2:3], v15, v14, s[2:3]
	global_load_dwordx2 v[19:20], v[13:14], off
	v_lshlrev_b64 v[13:14], 5, v[17:18]
	v_add_co_u32_e64 v17, s[2:3], v27, v13
	v_addc_co_u32_e64 v18, s[2:3], v26, v14, s[2:3]
	v_add_co_u32_e64 v35, s[2:3], s29, v17
	v_addc_co_u32_e64 v36, s[2:3], 0, v18, s[2:3]
	;; [unrolled: 2-line block ×3, first 2 shown]
	global_load_dwordx2 v[13:14], v[17:18], off
	global_load_dword v15, v[35:36], off
	global_load_dword v16, v[37:38], off
	s_waitcnt vmcnt(3)
	v_subrev_co_u32_e64 v17, s[2:3], s28, v19
	v_subbrev_co_u32_e64 v18, s[2:3], 0, v20, s[2:3]
	v_lshlrev_b64 v[19:20], 1, v[17:18]
.LBB55_12:                              ;   in Loop: Header=BB55_10 Depth=2
	s_or_b64 exec, exec, s[26:27]
	ds_write_b64 v23, v[19:20]
	s_waitcnt vmcnt(0)
	ds_write2_b64 v30, v[13:14], v[15:16] offset1:1
	s_waitcnt lgkmcnt(0)
	; wave barrier
	s_and_saveexec_b64 s[26:27], vcc
	s_cbranch_execz .LBB55_9
; %bb.13:                               ;   in Loop: Header=BB55_10 Depth=2
	s_mov_b32 s31, 0
	v_mov_b32_e32 v13, v22
.LBB55_14:                              ;   Parent Loop BB55_7 Depth=1
                                        ;     Parent Loop BB55_10 Depth=2
                                        ; =>    This Inner Loop Header: Depth=3
	v_add_u32_e32 v14, s31, v0
	ds_read_b128 v[14:17], v14
	v_mov_b32_e32 v20, s13
	s_add_i32 s31, s31, 16
	s_cmpk_lg_i32 s31, 0x100
	s_waitcnt lgkmcnt(0)
	v_mul_lo_u32 v18, v15, s6
	v_mul_lo_u32 v19, v14, s7
	v_mad_u64_u32 v[14:15], s[2:3], v14, s6, 0
	v_mul_lo_u32 v35, v17, s6
	v_mul_lo_u32 v36, v16, s7
	v_mad_u64_u32 v[16:17], s[2:3], v16, s6, 0
	v_add3_u32 v15, v15, v19, v18
	v_lshlrev_b64 v[14:15], 3, v[14:15]
	v_add3_u32 v17, v17, v36, v35
	v_lshlrev_b64 v[16:17], 3, v[16:17]
	v_add_co_u32_e64 v14, s[2:3], v33, v14
	v_addc_co_u32_e64 v15, s[2:3], v34, v15, s[2:3]
	v_add_co_u32_e64 v16, s[2:3], v33, v16
	v_addc_co_u32_e64 v17, s[2:3], v34, v17, s[2:3]
	global_load_dwordx2 v[18:19], v[14:15], off
	v_add_co_u32_e64 v14, s[2:3], s12, v14
	v_addc_co_u32_e64 v15, s[2:3], v15, v20, s[2:3]
	v_add_co_u32_e64 v35, s[2:3], s12, v16
	v_addc_co_u32_e64 v36, s[2:3], v17, v20, s[2:3]
	global_load_dwordx2 v[39:40], v[14:15], off
	global_load_dwordx2 v[41:42], v[16:17], off
	;; [unrolled: 1-line block ×3, first 2 shown]
	ds_read_b128 v[14:17], v13
	ds_read2_b64 v[35:38], v13 offset0:3 offset1:4
	v_add_u32_e32 v13, 48, v13
	s_waitcnt vmcnt(3) lgkmcnt(1)
	v_fmac_f32_e32 v32, v14, v18
	v_fmac_f32_e32 v31, v15, v18
	v_fma_f32 v15, -v15, v19, v32
	v_fmac_f32_e32 v31, v14, v19
	s_waitcnt vmcnt(2)
	v_fmac_f32_e32 v15, v16, v39
	v_fmac_f32_e32 v31, v17, v39
	v_fma_f32 v14, -v17, v40, v15
	v_fmac_f32_e32 v31, v16, v40
	s_waitcnt vmcnt(1) lgkmcnt(0)
	v_fmac_f32_e32 v14, v35, v41
	v_fmac_f32_e32 v31, v36, v41
	v_fma_f32 v14, -v36, v42, v14
	v_fmac_f32_e32 v31, v35, v42
	s_waitcnt vmcnt(0)
	v_fmac_f32_e32 v14, v37, v43
	v_fmac_f32_e32 v31, v38, v43
	v_fma_f32 v32, -v38, v44, v14
	v_fmac_f32_e32 v31, v37, v44
	s_cbranch_scc1 .LBB55_14
	s_branch .LBB55_9
.LBB55_15:                              ;   in Loop: Header=BB55_7 Depth=1
	s_or_b64 exec, exec, s[24:25]
.LBB55_16:                              ;   in Loop: Header=BB55_7 Depth=1
	s_or_b64 exec, exec, s[20:21]
	v_cmp_gt_i64_e32 vcc, s[18:19], v[9:10]
	s_and_saveexec_b64 s[2:3], vcc
	s_cbranch_execz .LBB55_6
; %bb.17:                               ;   in Loop: Header=BB55_7 Depth=1
	s_and_saveexec_b64 s[20:21], s[8:9]
	s_xor_b64 s[20:21], exec, s[20:21]
	s_cbranch_execz .LBB55_22
; %bb.18:                               ;   in Loop: Header=BB55_7 Depth=1
	s_mov_b64 s[24:25], -1
	s_and_b64 vcc, exec, s[16:17]
	s_cbranch_vccz .LBB55_20
; %bb.19:                               ;   in Loop: Header=BB55_7 Depth=1
	v_lshlrev_b64 v[11:12], 3, v[9:10]
	v_mul_f32_e64 v15, v31, -v2
	v_add_co_u32_e32 v11, vcc, v28, v11
	v_addc_co_u32_e32 v12, vcc, v29, v12, vcc
	global_load_dwordx2 v[13:14], v[11:12], off
	v_mul_f32_e32 v16, v1, v31
	v_fmac_f32_e32 v15, v1, v32
	v_fmac_f32_e32 v16, v2, v32
	s_mov_b64 s[24:25], 0
	s_waitcnt vmcnt(0)
	v_fmac_f32_e32 v15, v3, v13
	v_fmac_f32_e32 v16, v4, v13
	v_fma_f32 v15, -v4, v14, v15
	v_fmac_f32_e32 v16, v3, v14
	global_store_dwordx2 v[11:12], v[15:16], off
.LBB55_20:                              ;   in Loop: Header=BB55_7 Depth=1
	s_andn2_b64 vcc, exec, s[24:25]
	s_cbranch_vccnz .LBB55_22
; %bb.21:                               ;   in Loop: Header=BB55_7 Depth=1
	v_mul_lo_u32 v11, v10, s22
	v_mul_lo_u32 v12, v9, s23
	v_mad_u64_u32 v[9:10], s[24:25], v9, s22, 0
	v_mul_f32_e64 v13, v31, -v2
	v_mul_f32_e32 v14, v1, v31
	v_add3_u32 v10, v10, v12, v11
	v_lshlrev_b64 v[9:10], 3, v[9:10]
	v_fmac_f32_e32 v13, v1, v32
	v_add_co_u32_e32 v9, vcc, v24, v9
	v_addc_co_u32_e32 v10, vcc, v25, v10, vcc
	global_load_dwordx2 v[11:12], v[9:10], off
	v_fmac_f32_e32 v14, v2, v32
                                        ; implicit-def: $vgpr31
                                        ; implicit-def: $vgpr32
	s_waitcnt vmcnt(0)
	v_fmac_f32_e32 v13, v3, v11
	v_fmac_f32_e32 v14, v4, v11
	v_fma_f32 v13, -v4, v12, v13
	v_fmac_f32_e32 v14, v3, v12
	global_store_dwordx2 v[9:10], v[13:14], off
                                        ; implicit-def: $vgpr9_vgpr10
.LBB55_22:                              ;   in Loop: Header=BB55_7 Depth=1
	s_andn2_saveexec_b64 s[20:21], s[20:21]
	s_cbranch_execz .LBB55_6
; %bb.23:                               ;   in Loop: Header=BB55_7 Depth=1
	v_mul_f32_e64 v11, v31, -v2
	v_mul_f32_e32 v12, v1, v31
	v_fmac_f32_e32 v11, v1, v32
	v_fmac_f32_e32 v12, v2, v32
	s_mov_b64 s[20:21], -1
	s_and_b64 vcc, exec, s[16:17]
	s_cbranch_vccz .LBB55_25
; %bb.24:                               ;   in Loop: Header=BB55_7 Depth=1
	v_lshlrev_b64 v[13:14], 3, v[9:10]
	s_mov_b64 s[20:21], 0
	v_add_co_u32_e32 v13, vcc, v28, v13
	v_addc_co_u32_e32 v14, vcc, v29, v14, vcc
	global_store_dwordx2 v[13:14], v[11:12], off
.LBB55_25:                              ;   in Loop: Header=BB55_7 Depth=1
	s_andn2_b64 vcc, exec, s[20:21]
	s_cbranch_vccnz .LBB55_6
; %bb.26:                               ;   in Loop: Header=BB55_7 Depth=1
	v_mul_lo_u32 v13, v10, s22
	v_mul_lo_u32 v14, v9, s23
	v_mad_u64_u32 v[9:10], s[20:21], v9, s22, 0
	v_add3_u32 v10, v10, v14, v13
	v_lshlrev_b64 v[9:10], 3, v[9:10]
	v_add_co_u32_e32 v9, vcc, v24, v9
	v_addc_co_u32_e32 v10, vcc, v25, v10, vcc
	global_store_dwordx2 v[9:10], v[11:12], off
	s_branch .LBB55_6
.LBB55_27:
	s_endpgm
	.section	.rodata,"a",@progbits
	.p2align	6, 0x0
	.amdhsa_kernel _ZN9rocsparseL29bsrmmnt_small_blockdim_kernelILj64ELj32ELj2Ell21rocsparse_complex_numIfES2_S2_S2_EEv20rocsparse_direction_T3_S4_llNS_24const_host_device_scalarIT7_EEPKT2_PKS4_PKT4_PKT5_llS7_PT6_ll16rocsparse_order_21rocsparse_index_base_b
		.amdhsa_group_segment_fixed_size 2048
		.amdhsa_private_segment_fixed_size 0
		.amdhsa_kernarg_size 400
		.amdhsa_user_sgpr_count 6
		.amdhsa_user_sgpr_private_segment_buffer 1
		.amdhsa_user_sgpr_dispatch_ptr 0
		.amdhsa_user_sgpr_queue_ptr 0
		.amdhsa_user_sgpr_kernarg_segment_ptr 1
		.amdhsa_user_sgpr_dispatch_id 0
		.amdhsa_user_sgpr_flat_scratch_init 0
		.amdhsa_user_sgpr_private_segment_size 0
		.amdhsa_uses_dynamic_stack 0
		.amdhsa_system_sgpr_private_segment_wavefront_offset 0
		.amdhsa_system_sgpr_workgroup_id_x 1
		.amdhsa_system_sgpr_workgroup_id_y 0
		.amdhsa_system_sgpr_workgroup_id_z 0
		.amdhsa_system_sgpr_workgroup_info 0
		.amdhsa_system_vgpr_workitem_id 0
		.amdhsa_next_free_vgpr 45
		.amdhsa_next_free_sgpr 61
		.amdhsa_reserve_vcc 1
		.amdhsa_reserve_flat_scratch 0
		.amdhsa_float_round_mode_32 0
		.amdhsa_float_round_mode_16_64 0
		.amdhsa_float_denorm_mode_32 3
		.amdhsa_float_denorm_mode_16_64 3
		.amdhsa_dx10_clamp 1
		.amdhsa_ieee_mode 1
		.amdhsa_fp16_overflow 0
		.amdhsa_exception_fp_ieee_invalid_op 0
		.amdhsa_exception_fp_denorm_src 0
		.amdhsa_exception_fp_ieee_div_zero 0
		.amdhsa_exception_fp_ieee_overflow 0
		.amdhsa_exception_fp_ieee_underflow 0
		.amdhsa_exception_fp_ieee_inexact 0
		.amdhsa_exception_int_div_zero 0
	.end_amdhsa_kernel
	.section	.text._ZN9rocsparseL29bsrmmnt_small_blockdim_kernelILj64ELj32ELj2Ell21rocsparse_complex_numIfES2_S2_S2_EEv20rocsparse_direction_T3_S4_llNS_24const_host_device_scalarIT7_EEPKT2_PKS4_PKT4_PKT5_llS7_PT6_ll16rocsparse_order_21rocsparse_index_base_b,"axG",@progbits,_ZN9rocsparseL29bsrmmnt_small_blockdim_kernelILj64ELj32ELj2Ell21rocsparse_complex_numIfES2_S2_S2_EEv20rocsparse_direction_T3_S4_llNS_24const_host_device_scalarIT7_EEPKT2_PKS4_PKT4_PKT5_llS7_PT6_ll16rocsparse_order_21rocsparse_index_base_b,comdat
.Lfunc_end55:
	.size	_ZN9rocsparseL29bsrmmnt_small_blockdim_kernelILj64ELj32ELj2Ell21rocsparse_complex_numIfES2_S2_S2_EEv20rocsparse_direction_T3_S4_llNS_24const_host_device_scalarIT7_EEPKT2_PKS4_PKT4_PKT5_llS7_PT6_ll16rocsparse_order_21rocsparse_index_base_b, .Lfunc_end55-_ZN9rocsparseL29bsrmmnt_small_blockdim_kernelILj64ELj32ELj2Ell21rocsparse_complex_numIfES2_S2_S2_EEv20rocsparse_direction_T3_S4_llNS_24const_host_device_scalarIT7_EEPKT2_PKS4_PKT4_PKT5_llS7_PT6_ll16rocsparse_order_21rocsparse_index_base_b
                                        ; -- End function
	.set _ZN9rocsparseL29bsrmmnt_small_blockdim_kernelILj64ELj32ELj2Ell21rocsparse_complex_numIfES2_S2_S2_EEv20rocsparse_direction_T3_S4_llNS_24const_host_device_scalarIT7_EEPKT2_PKS4_PKT4_PKT5_llS7_PT6_ll16rocsparse_order_21rocsparse_index_base_b.num_vgpr, 45
	.set _ZN9rocsparseL29bsrmmnt_small_blockdim_kernelILj64ELj32ELj2Ell21rocsparse_complex_numIfES2_S2_S2_EEv20rocsparse_direction_T3_S4_llNS_24const_host_device_scalarIT7_EEPKT2_PKS4_PKT4_PKT5_llS7_PT6_ll16rocsparse_order_21rocsparse_index_base_b.num_agpr, 0
	.set _ZN9rocsparseL29bsrmmnt_small_blockdim_kernelILj64ELj32ELj2Ell21rocsparse_complex_numIfES2_S2_S2_EEv20rocsparse_direction_T3_S4_llNS_24const_host_device_scalarIT7_EEPKT2_PKS4_PKT4_PKT5_llS7_PT6_ll16rocsparse_order_21rocsparse_index_base_b.numbered_sgpr, 32
	.set _ZN9rocsparseL29bsrmmnt_small_blockdim_kernelILj64ELj32ELj2Ell21rocsparse_complex_numIfES2_S2_S2_EEv20rocsparse_direction_T3_S4_llNS_24const_host_device_scalarIT7_EEPKT2_PKS4_PKT4_PKT5_llS7_PT6_ll16rocsparse_order_21rocsparse_index_base_b.num_named_barrier, 0
	.set _ZN9rocsparseL29bsrmmnt_small_blockdim_kernelILj64ELj32ELj2Ell21rocsparse_complex_numIfES2_S2_S2_EEv20rocsparse_direction_T3_S4_llNS_24const_host_device_scalarIT7_EEPKT2_PKS4_PKT4_PKT5_llS7_PT6_ll16rocsparse_order_21rocsparse_index_base_b.private_seg_size, 0
	.set _ZN9rocsparseL29bsrmmnt_small_blockdim_kernelILj64ELj32ELj2Ell21rocsparse_complex_numIfES2_S2_S2_EEv20rocsparse_direction_T3_S4_llNS_24const_host_device_scalarIT7_EEPKT2_PKS4_PKT4_PKT5_llS7_PT6_ll16rocsparse_order_21rocsparse_index_base_b.uses_vcc, 1
	.set _ZN9rocsparseL29bsrmmnt_small_blockdim_kernelILj64ELj32ELj2Ell21rocsparse_complex_numIfES2_S2_S2_EEv20rocsparse_direction_T3_S4_llNS_24const_host_device_scalarIT7_EEPKT2_PKS4_PKT4_PKT5_llS7_PT6_ll16rocsparse_order_21rocsparse_index_base_b.uses_flat_scratch, 0
	.set _ZN9rocsparseL29bsrmmnt_small_blockdim_kernelILj64ELj32ELj2Ell21rocsparse_complex_numIfES2_S2_S2_EEv20rocsparse_direction_T3_S4_llNS_24const_host_device_scalarIT7_EEPKT2_PKS4_PKT4_PKT5_llS7_PT6_ll16rocsparse_order_21rocsparse_index_base_b.has_dyn_sized_stack, 0
	.set _ZN9rocsparseL29bsrmmnt_small_blockdim_kernelILj64ELj32ELj2Ell21rocsparse_complex_numIfES2_S2_S2_EEv20rocsparse_direction_T3_S4_llNS_24const_host_device_scalarIT7_EEPKT2_PKS4_PKT4_PKT5_llS7_PT6_ll16rocsparse_order_21rocsparse_index_base_b.has_recursion, 0
	.set _ZN9rocsparseL29bsrmmnt_small_blockdim_kernelILj64ELj32ELj2Ell21rocsparse_complex_numIfES2_S2_S2_EEv20rocsparse_direction_T3_S4_llNS_24const_host_device_scalarIT7_EEPKT2_PKS4_PKT4_PKT5_llS7_PT6_ll16rocsparse_order_21rocsparse_index_base_b.has_indirect_call, 0
	.section	.AMDGPU.csdata,"",@progbits
; Kernel info:
; codeLenInByte = 1608
; TotalNumSgprs: 36
; NumVgprs: 45
; ScratchSize: 0
; MemoryBound: 0
; FloatMode: 240
; IeeeMode: 1
; LDSByteSize: 2048 bytes/workgroup (compile time only)
; SGPRBlocks: 8
; VGPRBlocks: 11
; NumSGPRsForWavesPerEU: 65
; NumVGPRsForWavesPerEU: 45
; Occupancy: 5
; WaveLimiterHint : 1
; COMPUTE_PGM_RSRC2:SCRATCH_EN: 0
; COMPUTE_PGM_RSRC2:USER_SGPR: 6
; COMPUTE_PGM_RSRC2:TRAP_HANDLER: 0
; COMPUTE_PGM_RSRC2:TGID_X_EN: 1
; COMPUTE_PGM_RSRC2:TGID_Y_EN: 0
; COMPUTE_PGM_RSRC2:TGID_Z_EN: 0
; COMPUTE_PGM_RSRC2:TIDIG_COMP_CNT: 0
	.section	.text._ZN9rocsparseL29bsrmmnt_small_blockdim_kernelILj64ELj64ELj2Ell21rocsparse_complex_numIfES2_S2_S2_EEv20rocsparse_direction_T3_S4_llNS_24const_host_device_scalarIT7_EEPKT2_PKS4_PKT4_PKT5_llS7_PT6_ll16rocsparse_order_21rocsparse_index_base_b,"axG",@progbits,_ZN9rocsparseL29bsrmmnt_small_blockdim_kernelILj64ELj64ELj2Ell21rocsparse_complex_numIfES2_S2_S2_EEv20rocsparse_direction_T3_S4_llNS_24const_host_device_scalarIT7_EEPKT2_PKS4_PKT4_PKT5_llS7_PT6_ll16rocsparse_order_21rocsparse_index_base_b,comdat
	.globl	_ZN9rocsparseL29bsrmmnt_small_blockdim_kernelILj64ELj64ELj2Ell21rocsparse_complex_numIfES2_S2_S2_EEv20rocsparse_direction_T3_S4_llNS_24const_host_device_scalarIT7_EEPKT2_PKS4_PKT4_PKT5_llS7_PT6_ll16rocsparse_order_21rocsparse_index_base_b ; -- Begin function _ZN9rocsparseL29bsrmmnt_small_blockdim_kernelILj64ELj64ELj2Ell21rocsparse_complex_numIfES2_S2_S2_EEv20rocsparse_direction_T3_S4_llNS_24const_host_device_scalarIT7_EEPKT2_PKS4_PKT4_PKT5_llS7_PT6_ll16rocsparse_order_21rocsparse_index_base_b
	.p2align	8
	.type	_ZN9rocsparseL29bsrmmnt_small_blockdim_kernelILj64ELj64ELj2Ell21rocsparse_complex_numIfES2_S2_S2_EEv20rocsparse_direction_T3_S4_llNS_24const_host_device_scalarIT7_EEPKT2_PKS4_PKT4_PKT5_llS7_PT6_ll16rocsparse_order_21rocsparse_index_base_b,@function
_ZN9rocsparseL29bsrmmnt_small_blockdim_kernelILj64ELj64ELj2Ell21rocsparse_complex_numIfES2_S2_S2_EEv20rocsparse_direction_T3_S4_llNS_24const_host_device_scalarIT7_EEPKT2_PKS4_PKT4_PKT5_llS7_PT6_ll16rocsparse_order_21rocsparse_index_base_b: ; @_ZN9rocsparseL29bsrmmnt_small_blockdim_kernelILj64ELj64ELj2Ell21rocsparse_complex_numIfES2_S2_S2_EEv20rocsparse_direction_T3_S4_llNS_24const_host_device_scalarIT7_EEPKT2_PKS4_PKT4_PKT5_llS7_PT6_ll16rocsparse_order_21rocsparse_index_base_b
; %bb.0:
	s_load_dwordx2 s[0:1], s[4:5], 0x28
	s_load_dwordx2 s[2:3], s[4:5], 0x60
	s_load_dwordx4 s[24:27], s[4:5], 0x80
	s_add_u32 s7, s4, 40
	s_addc_u32 s8, s5, 0
	s_add_u32 s9, s4, 0x60
	s_addc_u32 s10, s5, 0
	s_waitcnt lgkmcnt(0)
	s_bitcmp1_b32 s26, 0
	s_cselect_b32 s1, s8, s1
	s_cselect_b32 s0, s7, s0
	v_mov_b32_e32 v1, s0
	v_mov_b32_e32 v2, s1
	flat_load_dwordx2 v[1:2], v[1:2]
	s_cselect_b32 s0, s10, s3
	s_cselect_b32 s1, s9, s2
	v_mov_b32_e32 v3, s1
	v_mov_b32_e32 v4, s0
	flat_load_dwordx2 v[3:4], v[3:4]
	s_waitcnt vmcnt(0) lgkmcnt(0)
	v_cmp_eq_f32_e32 vcc, 0, v1
	v_cmp_eq_f32_e64 s[0:1], 0, v2
	s_and_b64 s[8:9], vcc, s[0:1]
	s_mov_b64 s[0:1], -1
	s_and_saveexec_b64 s[2:3], s[8:9]
; %bb.1:
	v_cmp_neq_f32_e32 vcc, 1.0, v3
	v_cmp_neq_f32_e64 s[0:1], 0, v4
	s_or_b64 s[0:1], vcc, s[0:1]
	s_orn2_b64 s[0:1], s[0:1], exec
; %bb.2:
	s_or_b64 exec, exec, s[2:3]
	s_and_saveexec_b64 s[2:3], s[0:1]
	s_cbranch_execz .LBB56_27
; %bb.3:
	s_load_dword s0, s[4:5], 0x9c
	s_load_dwordx4 s[16:19], s[4:5], 0x8
	v_mov_b32_e32 v6, 0
	s_waitcnt lgkmcnt(0)
	s_and_b32 s0, s0, 0xffff
	s_mul_i32 s6, s6, s0
	v_add_u32_e32 v7, s6, v0
	v_lshrrev_b32_e32 v5, 7, v7
	v_cmp_gt_i64_e32 vcc, s[16:17], v[5:6]
	s_and_b64 exec, exec, vcc
	s_cbranch_execz .LBB56_27
; %bb.4:
	v_cmp_lt_i64_e64 s[0:1], s[18:19], 1
	s_and_b64 vcc, exec, s[0:1]
	s_cbranch_vccnz .LBB56_27
; %bb.5:
	s_load_dwordx8 s[8:15], s[4:5], 0x30
	v_lshlrev_b32_e32 v5, 3, v5
	v_lshrrev_b32_e32 v7, 6, v7
	v_cmp_neq_f32_e32 vcc, 0, v3
	v_cmp_neq_f32_e64 s[0:1], 0, v4
	s_waitcnt lgkmcnt(0)
	global_load_dwordx4 v[9:12], v5, s[8:9]
	s_load_dword s2, s[4:5], 0x0
	s_load_dwordx4 s[20:23], s[4:5], 0x68
	s_load_dwordx2 s[6:7], s[4:5], 0x50
	s_or_b64 s[4:5], vcc, s[0:1]
	v_lshlrev_b32_e32 v8, 3, v7
	v_and_b32_e32 v13, 8, v8
	s_waitcnt lgkmcnt(0)
	v_mad_u64_u32 v[5:6], s[0:1], v7, s22, 0
	v_mov_b32_e32 v14, s13
	v_add_co_u32_e32 v17, vcc, s12, v13
	v_addc_co_u32_e32 v14, vcc, 0, v14, vcc
	v_mad_u64_u32 v[6:7], s[0:1], v7, s23, v[6:7]
	v_mov_b32_e32 v16, s21
	v_add_co_u32_e32 v24, vcc, s20, v8
	v_addc_co_u32_e32 v25, vcc, 0, v16, vcc
	s_cmp_lg_u32 s24, 1
	v_add_co_u32_e32 v8, vcc, v17, v13
	s_cselect_b64 s[8:9], -1, 0
	s_cmp_eq_u32 s2, 0
	v_addc_co_u32_e32 v13, vcc, 0, v14, vcc
	v_lshlrev_b64 v[5:6], 3, v[5:6]
	s_cselect_b64 vcc, -1, 0
	v_mov_b32_e32 v15, s21
	v_cndmask_b32_e32 v26, v14, v13, vcc
	v_cndmask_b32_e32 v27, v17, v8, vcc
	s_and_b64 s[0:1], vcc, exec
	v_add_co_u32_e32 v28, vcc, s20, v5
	v_addc_co_u32_e32 v29, vcc, v15, v6, vcc
	v_mov_b32_e32 v21, 0x600
	s_mov_b32 s28, s25
	v_mul_u32_u24_e32 v22, 24, v0
	v_lshl_or_b32 v23, v0, 3, v21
	s_cselect_b32 s29, 8, 16
	s_cselect_b32 s30, 12, 20
	s_mov_b64 s[12:13], 0
	s_lshl_b64 s[16:17], s[6:7], 3
	s_waitcnt vmcnt(0)
	v_subrev_co_u32_e32 v5, vcc, s25, v9
	v_subbrev_co_u32_e32 v6, vcc, 0, v10, vcc
	v_subrev_co_u32_e32 v7, vcc, s25, v11
	v_cmp_lt_i64_e64 s[0:1], v[9:10], v[11:12]
	v_subbrev_co_u32_e32 v8, vcc, 0, v12, vcc
	s_branch .LBB56_7
.LBB56_6:                               ;   in Loop: Header=BB56_7 Depth=1
	s_or_b64 exec, exec, s[2:3]
	s_add_u32 s12, s12, 64
	v_mov_b32_e32 v9, s18
	s_addc_u32 s13, s13, 0
	v_mov_b32_e32 v10, s19
	v_cmp_lt_i64_e32 vcc, s[12:13], v[9:10]
	s_cbranch_vccz .LBB56_27
.LBB56_7:                               ; =>This Loop Header: Depth=1
                                        ;     Child Loop BB56_10 Depth 2
                                        ;       Child Loop BB56_14 Depth 3
	v_mov_b32_e32 v10, s13
	v_or_b32_e32 v9, s12, v0
	v_mov_b32_e32 v30, 0
	v_mov_b32_e32 v31, 0
	s_and_saveexec_b64 s[20:21], s[0:1]
	s_cbranch_execz .LBB56_16
; %bb.8:                                ;   in Loop: Header=BB56_7 Depth=1
	v_lshlrev_b64 v[11:12], 3, v[9:10]
	v_mov_b32_e32 v13, s15
	v_add_co_u32_e64 v32, s[2:3], s14, v11
	v_cmp_gt_i64_e32 vcc, s[18:19], v[9:10]
	v_addc_co_u32_e64 v33, s[2:3], v13, v12, s[2:3]
	v_mov_b32_e32 v12, v6
	v_mov_b32_e32 v30, 0
	s_mov_b64 s[24:25], 0
	v_mov_b32_e32 v11, v5
	v_mov_b32_e32 v31, 0
	s_branch .LBB56_10
.LBB56_9:                               ;   in Loop: Header=BB56_10 Depth=2
	s_or_b64 exec, exec, s[26:27]
	v_add_co_u32_e64 v11, s[2:3], 64, v11
	v_addc_co_u32_e64 v12, s[2:3], 0, v12, s[2:3]
	v_cmp_ge_i64_e64 s[2:3], v[11:12], v[7:8]
	s_or_b64 s[24:25], s[2:3], s[24:25]
	s_andn2_b64 exec, exec, s[24:25]
	s_cbranch_execz .LBB56_15
.LBB56_10:                              ;   Parent Loop BB56_7 Depth=1
                                        ; =>  This Loop Header: Depth=2
                                        ;       Child Loop BB56_14 Depth 3
	v_add_co_u32_e64 v17, s[2:3], v11, v0
	v_addc_co_u32_e64 v18, s[2:3], 0, v12, s[2:3]
	v_cmp_lt_i64_e64 s[2:3], v[17:18], v[7:8]
	v_mov_b32_e32 v19, 0
	v_mov_b32_e32 v20, 0
	;; [unrolled: 1-line block ×6, first 2 shown]
	s_and_saveexec_b64 s[26:27], s[2:3]
	s_cbranch_execz .LBB56_12
; %bb.11:                               ;   in Loop: Header=BB56_10 Depth=2
	v_lshlrev_b64 v[13:14], 3, v[17:18]
	v_mov_b32_e32 v15, s11
	v_add_co_u32_e64 v13, s[2:3], s10, v13
	v_addc_co_u32_e64 v14, s[2:3], v15, v14, s[2:3]
	global_load_dwordx2 v[19:20], v[13:14], off
	v_lshlrev_b64 v[13:14], 5, v[17:18]
	v_add_co_u32_e64 v17, s[2:3], v27, v13
	v_addc_co_u32_e64 v18, s[2:3], v26, v14, s[2:3]
	v_add_co_u32_e64 v34, s[2:3], s29, v17
	v_addc_co_u32_e64 v35, s[2:3], 0, v18, s[2:3]
	;; [unrolled: 2-line block ×3, first 2 shown]
	global_load_dwordx2 v[13:14], v[17:18], off
	global_load_dword v15, v[34:35], off
	global_load_dword v16, v[36:37], off
	s_waitcnt vmcnt(3)
	v_subrev_co_u32_e64 v17, s[2:3], s28, v19
	v_subbrev_co_u32_e64 v18, s[2:3], 0, v20, s[2:3]
	v_lshlrev_b64 v[19:20], 1, v[17:18]
.LBB56_12:                              ;   in Loop: Header=BB56_10 Depth=2
	s_or_b64 exec, exec, s[26:27]
	ds_write_b64 v23, v[19:20]
	s_waitcnt vmcnt(0)
	ds_write2_b64 v22, v[13:14], v[15:16] offset1:1
	s_waitcnt lgkmcnt(0)
	; wave barrier
	s_and_saveexec_b64 s[26:27], vcc
	s_cbranch_execz .LBB56_9
; %bb.13:                               ;   in Loop: Header=BB56_10 Depth=2
	s_mov_b32 s31, 0
	v_mov_b32_e32 v13, 0
.LBB56_14:                              ;   Parent Loop BB56_7 Depth=1
                                        ;     Parent Loop BB56_10 Depth=2
                                        ; =>    This Inner Loop Header: Depth=3
	v_add_u32_e32 v14, s31, v21
	ds_read_b128 v[14:17], v14
	v_mov_b32_e32 v20, s17
	s_add_i32 s31, s31, 16
	s_cmpk_lg_i32 s31, 0x200
	s_waitcnt lgkmcnt(0)
	v_mul_lo_u32 v18, v15, s6
	v_mul_lo_u32 v19, v14, s7
	v_mad_u64_u32 v[14:15], s[2:3], v14, s6, 0
	v_mul_lo_u32 v34, v17, s6
	v_mul_lo_u32 v35, v16, s7
	v_mad_u64_u32 v[16:17], s[2:3], v16, s6, 0
	v_add3_u32 v15, v15, v19, v18
	v_lshlrev_b64 v[14:15], 3, v[14:15]
	v_add3_u32 v17, v17, v35, v34
	v_lshlrev_b64 v[16:17], 3, v[16:17]
	v_add_co_u32_e64 v14, s[2:3], v32, v14
	v_addc_co_u32_e64 v15, s[2:3], v33, v15, s[2:3]
	v_add_co_u32_e64 v16, s[2:3], v32, v16
	v_addc_co_u32_e64 v17, s[2:3], v33, v17, s[2:3]
	global_load_dwordx2 v[18:19], v[14:15], off
	v_add_co_u32_e64 v14, s[2:3], s16, v14
	v_addc_co_u32_e64 v15, s[2:3], v15, v20, s[2:3]
	v_add_co_u32_e64 v34, s[2:3], s16, v16
	v_addc_co_u32_e64 v35, s[2:3], v17, v20, s[2:3]
	global_load_dwordx2 v[38:39], v[14:15], off
	global_load_dwordx2 v[40:41], v[16:17], off
	;; [unrolled: 1-line block ×3, first 2 shown]
	ds_read_b128 v[14:17], v13
	ds_read2_b64 v[34:37], v13 offset0:3 offset1:4
	v_add_u32_e32 v13, 48, v13
	s_waitcnt vmcnt(3) lgkmcnt(1)
	v_fmac_f32_e32 v31, v14, v18
	v_fmac_f32_e32 v30, v15, v18
	v_fma_f32 v15, -v15, v19, v31
	v_fmac_f32_e32 v30, v14, v19
	s_waitcnt vmcnt(2)
	v_fmac_f32_e32 v15, v16, v38
	v_fmac_f32_e32 v30, v17, v38
	v_fma_f32 v14, -v17, v39, v15
	v_fmac_f32_e32 v30, v16, v39
	s_waitcnt vmcnt(1) lgkmcnt(0)
	v_fmac_f32_e32 v14, v34, v40
	v_fmac_f32_e32 v30, v35, v40
	v_fma_f32 v14, -v35, v41, v14
	v_fmac_f32_e32 v30, v34, v41
	s_waitcnt vmcnt(0)
	v_fmac_f32_e32 v14, v36, v42
	v_fmac_f32_e32 v30, v37, v42
	v_fma_f32 v31, -v37, v43, v14
	v_fmac_f32_e32 v30, v36, v43
	s_cbranch_scc1 .LBB56_14
	s_branch .LBB56_9
.LBB56_15:                              ;   in Loop: Header=BB56_7 Depth=1
	s_or_b64 exec, exec, s[24:25]
.LBB56_16:                              ;   in Loop: Header=BB56_7 Depth=1
	s_or_b64 exec, exec, s[20:21]
	v_cmp_gt_i64_e32 vcc, s[18:19], v[9:10]
	s_and_saveexec_b64 s[2:3], vcc
	s_cbranch_execz .LBB56_6
; %bb.17:                               ;   in Loop: Header=BB56_7 Depth=1
	s_and_saveexec_b64 s[20:21], s[4:5]
	s_xor_b64 s[20:21], exec, s[20:21]
	s_cbranch_execz .LBB56_22
; %bb.18:                               ;   in Loop: Header=BB56_7 Depth=1
	s_mov_b64 s[24:25], -1
	s_and_b64 vcc, exec, s[8:9]
	s_cbranch_vccz .LBB56_20
; %bb.19:                               ;   in Loop: Header=BB56_7 Depth=1
	v_lshlrev_b64 v[11:12], 3, v[9:10]
	v_mul_f32_e64 v15, v30, -v2
	v_add_co_u32_e32 v11, vcc, v28, v11
	v_addc_co_u32_e32 v12, vcc, v29, v12, vcc
	global_load_dwordx2 v[13:14], v[11:12], off
	v_mul_f32_e32 v16, v1, v30
	v_fmac_f32_e32 v15, v1, v31
	v_fmac_f32_e32 v16, v2, v31
	s_mov_b64 s[24:25], 0
	s_waitcnt vmcnt(0)
	v_fmac_f32_e32 v15, v3, v13
	v_fmac_f32_e32 v16, v4, v13
	v_fma_f32 v15, -v4, v14, v15
	v_fmac_f32_e32 v16, v3, v14
	global_store_dwordx2 v[11:12], v[15:16], off
.LBB56_20:                              ;   in Loop: Header=BB56_7 Depth=1
	s_andn2_b64 vcc, exec, s[24:25]
	s_cbranch_vccnz .LBB56_22
; %bb.21:                               ;   in Loop: Header=BB56_7 Depth=1
	v_mul_lo_u32 v11, v10, s22
	v_mul_lo_u32 v12, v9, s23
	v_mad_u64_u32 v[9:10], s[24:25], v9, s22, 0
	v_mul_f32_e64 v13, v30, -v2
	v_mul_f32_e32 v14, v1, v30
	v_add3_u32 v10, v10, v12, v11
	v_lshlrev_b64 v[9:10], 3, v[9:10]
	v_fmac_f32_e32 v13, v1, v31
	v_add_co_u32_e32 v9, vcc, v24, v9
	v_addc_co_u32_e32 v10, vcc, v25, v10, vcc
	global_load_dwordx2 v[11:12], v[9:10], off
	v_fmac_f32_e32 v14, v2, v31
                                        ; implicit-def: $vgpr30
                                        ; implicit-def: $vgpr31
	s_waitcnt vmcnt(0)
	v_fmac_f32_e32 v13, v3, v11
	v_fmac_f32_e32 v14, v4, v11
	v_fma_f32 v13, -v4, v12, v13
	v_fmac_f32_e32 v14, v3, v12
	global_store_dwordx2 v[9:10], v[13:14], off
                                        ; implicit-def: $vgpr9_vgpr10
.LBB56_22:                              ;   in Loop: Header=BB56_7 Depth=1
	s_andn2_saveexec_b64 s[20:21], s[20:21]
	s_cbranch_execz .LBB56_6
; %bb.23:                               ;   in Loop: Header=BB56_7 Depth=1
	v_mul_f32_e64 v11, v30, -v2
	v_mul_f32_e32 v12, v1, v30
	v_fmac_f32_e32 v11, v1, v31
	v_fmac_f32_e32 v12, v2, v31
	s_mov_b64 s[20:21], -1
	s_and_b64 vcc, exec, s[8:9]
	s_cbranch_vccz .LBB56_25
; %bb.24:                               ;   in Loop: Header=BB56_7 Depth=1
	v_lshlrev_b64 v[13:14], 3, v[9:10]
	s_mov_b64 s[20:21], 0
	v_add_co_u32_e32 v13, vcc, v28, v13
	v_addc_co_u32_e32 v14, vcc, v29, v14, vcc
	global_store_dwordx2 v[13:14], v[11:12], off
.LBB56_25:                              ;   in Loop: Header=BB56_7 Depth=1
	s_andn2_b64 vcc, exec, s[20:21]
	s_cbranch_vccnz .LBB56_6
; %bb.26:                               ;   in Loop: Header=BB56_7 Depth=1
	v_mul_lo_u32 v13, v10, s22
	v_mul_lo_u32 v14, v9, s23
	v_mad_u64_u32 v[9:10], s[20:21], v9, s22, 0
	v_add3_u32 v10, v10, v14, v13
	v_lshlrev_b64 v[9:10], 3, v[9:10]
	v_add_co_u32_e32 v9, vcc, v24, v9
	v_addc_co_u32_e32 v10, vcc, v25, v10, vcc
	global_store_dwordx2 v[9:10], v[11:12], off
	s_branch .LBB56_6
.LBB56_27:
	s_endpgm
	.section	.rodata,"a",@progbits
	.p2align	6, 0x0
	.amdhsa_kernel _ZN9rocsparseL29bsrmmnt_small_blockdim_kernelILj64ELj64ELj2Ell21rocsparse_complex_numIfES2_S2_S2_EEv20rocsparse_direction_T3_S4_llNS_24const_host_device_scalarIT7_EEPKT2_PKS4_PKT4_PKT5_llS7_PT6_ll16rocsparse_order_21rocsparse_index_base_b
		.amdhsa_group_segment_fixed_size 2048
		.amdhsa_private_segment_fixed_size 0
		.amdhsa_kernarg_size 400
		.amdhsa_user_sgpr_count 6
		.amdhsa_user_sgpr_private_segment_buffer 1
		.amdhsa_user_sgpr_dispatch_ptr 0
		.amdhsa_user_sgpr_queue_ptr 0
		.amdhsa_user_sgpr_kernarg_segment_ptr 1
		.amdhsa_user_sgpr_dispatch_id 0
		.amdhsa_user_sgpr_flat_scratch_init 0
		.amdhsa_user_sgpr_private_segment_size 0
		.amdhsa_uses_dynamic_stack 0
		.amdhsa_system_sgpr_private_segment_wavefront_offset 0
		.amdhsa_system_sgpr_workgroup_id_x 1
		.amdhsa_system_sgpr_workgroup_id_y 0
		.amdhsa_system_sgpr_workgroup_id_z 0
		.amdhsa_system_sgpr_workgroup_info 0
		.amdhsa_system_vgpr_workitem_id 0
		.amdhsa_next_free_vgpr 44
		.amdhsa_next_free_sgpr 61
		.amdhsa_reserve_vcc 1
		.amdhsa_reserve_flat_scratch 0
		.amdhsa_float_round_mode_32 0
		.amdhsa_float_round_mode_16_64 0
		.amdhsa_float_denorm_mode_32 3
		.amdhsa_float_denorm_mode_16_64 3
		.amdhsa_dx10_clamp 1
		.amdhsa_ieee_mode 1
		.amdhsa_fp16_overflow 0
		.amdhsa_exception_fp_ieee_invalid_op 0
		.amdhsa_exception_fp_denorm_src 0
		.amdhsa_exception_fp_ieee_div_zero 0
		.amdhsa_exception_fp_ieee_overflow 0
		.amdhsa_exception_fp_ieee_underflow 0
		.amdhsa_exception_fp_ieee_inexact 0
		.amdhsa_exception_int_div_zero 0
	.end_amdhsa_kernel
	.section	.text._ZN9rocsparseL29bsrmmnt_small_blockdim_kernelILj64ELj64ELj2Ell21rocsparse_complex_numIfES2_S2_S2_EEv20rocsparse_direction_T3_S4_llNS_24const_host_device_scalarIT7_EEPKT2_PKS4_PKT4_PKT5_llS7_PT6_ll16rocsparse_order_21rocsparse_index_base_b,"axG",@progbits,_ZN9rocsparseL29bsrmmnt_small_blockdim_kernelILj64ELj64ELj2Ell21rocsparse_complex_numIfES2_S2_S2_EEv20rocsparse_direction_T3_S4_llNS_24const_host_device_scalarIT7_EEPKT2_PKS4_PKT4_PKT5_llS7_PT6_ll16rocsparse_order_21rocsparse_index_base_b,comdat
.Lfunc_end56:
	.size	_ZN9rocsparseL29bsrmmnt_small_blockdim_kernelILj64ELj64ELj2Ell21rocsparse_complex_numIfES2_S2_S2_EEv20rocsparse_direction_T3_S4_llNS_24const_host_device_scalarIT7_EEPKT2_PKS4_PKT4_PKT5_llS7_PT6_ll16rocsparse_order_21rocsparse_index_base_b, .Lfunc_end56-_ZN9rocsparseL29bsrmmnt_small_blockdim_kernelILj64ELj64ELj2Ell21rocsparse_complex_numIfES2_S2_S2_EEv20rocsparse_direction_T3_S4_llNS_24const_host_device_scalarIT7_EEPKT2_PKS4_PKT4_PKT5_llS7_PT6_ll16rocsparse_order_21rocsparse_index_base_b
                                        ; -- End function
	.set _ZN9rocsparseL29bsrmmnt_small_blockdim_kernelILj64ELj64ELj2Ell21rocsparse_complex_numIfES2_S2_S2_EEv20rocsparse_direction_T3_S4_llNS_24const_host_device_scalarIT7_EEPKT2_PKS4_PKT4_PKT5_llS7_PT6_ll16rocsparse_order_21rocsparse_index_base_b.num_vgpr, 44
	.set _ZN9rocsparseL29bsrmmnt_small_blockdim_kernelILj64ELj64ELj2Ell21rocsparse_complex_numIfES2_S2_S2_EEv20rocsparse_direction_T3_S4_llNS_24const_host_device_scalarIT7_EEPKT2_PKS4_PKT4_PKT5_llS7_PT6_ll16rocsparse_order_21rocsparse_index_base_b.num_agpr, 0
	.set _ZN9rocsparseL29bsrmmnt_small_blockdim_kernelILj64ELj64ELj2Ell21rocsparse_complex_numIfES2_S2_S2_EEv20rocsparse_direction_T3_S4_llNS_24const_host_device_scalarIT7_EEPKT2_PKS4_PKT4_PKT5_llS7_PT6_ll16rocsparse_order_21rocsparse_index_base_b.numbered_sgpr, 32
	.set _ZN9rocsparseL29bsrmmnt_small_blockdim_kernelILj64ELj64ELj2Ell21rocsparse_complex_numIfES2_S2_S2_EEv20rocsparse_direction_T3_S4_llNS_24const_host_device_scalarIT7_EEPKT2_PKS4_PKT4_PKT5_llS7_PT6_ll16rocsparse_order_21rocsparse_index_base_b.num_named_barrier, 0
	.set _ZN9rocsparseL29bsrmmnt_small_blockdim_kernelILj64ELj64ELj2Ell21rocsparse_complex_numIfES2_S2_S2_EEv20rocsparse_direction_T3_S4_llNS_24const_host_device_scalarIT7_EEPKT2_PKS4_PKT4_PKT5_llS7_PT6_ll16rocsparse_order_21rocsparse_index_base_b.private_seg_size, 0
	.set _ZN9rocsparseL29bsrmmnt_small_blockdim_kernelILj64ELj64ELj2Ell21rocsparse_complex_numIfES2_S2_S2_EEv20rocsparse_direction_T3_S4_llNS_24const_host_device_scalarIT7_EEPKT2_PKS4_PKT4_PKT5_llS7_PT6_ll16rocsparse_order_21rocsparse_index_base_b.uses_vcc, 1
	.set _ZN9rocsparseL29bsrmmnt_small_blockdim_kernelILj64ELj64ELj2Ell21rocsparse_complex_numIfES2_S2_S2_EEv20rocsparse_direction_T3_S4_llNS_24const_host_device_scalarIT7_EEPKT2_PKS4_PKT4_PKT5_llS7_PT6_ll16rocsparse_order_21rocsparse_index_base_b.uses_flat_scratch, 0
	.set _ZN9rocsparseL29bsrmmnt_small_blockdim_kernelILj64ELj64ELj2Ell21rocsparse_complex_numIfES2_S2_S2_EEv20rocsparse_direction_T3_S4_llNS_24const_host_device_scalarIT7_EEPKT2_PKS4_PKT4_PKT5_llS7_PT6_ll16rocsparse_order_21rocsparse_index_base_b.has_dyn_sized_stack, 0
	.set _ZN9rocsparseL29bsrmmnt_small_blockdim_kernelILj64ELj64ELj2Ell21rocsparse_complex_numIfES2_S2_S2_EEv20rocsparse_direction_T3_S4_llNS_24const_host_device_scalarIT7_EEPKT2_PKS4_PKT4_PKT5_llS7_PT6_ll16rocsparse_order_21rocsparse_index_base_b.has_recursion, 0
	.set _ZN9rocsparseL29bsrmmnt_small_blockdim_kernelILj64ELj64ELj2Ell21rocsparse_complex_numIfES2_S2_S2_EEv20rocsparse_direction_T3_S4_llNS_24const_host_device_scalarIT7_EEPKT2_PKS4_PKT4_PKT5_llS7_PT6_ll16rocsparse_order_21rocsparse_index_base_b.has_indirect_call, 0
	.section	.AMDGPU.csdata,"",@progbits
; Kernel info:
; codeLenInByte = 1580
; TotalNumSgprs: 36
; NumVgprs: 44
; ScratchSize: 0
; MemoryBound: 0
; FloatMode: 240
; IeeeMode: 1
; LDSByteSize: 2048 bytes/workgroup (compile time only)
; SGPRBlocks: 8
; VGPRBlocks: 10
; NumSGPRsForWavesPerEU: 65
; NumVGPRsForWavesPerEU: 44
; Occupancy: 5
; WaveLimiterHint : 1
; COMPUTE_PGM_RSRC2:SCRATCH_EN: 0
; COMPUTE_PGM_RSRC2:USER_SGPR: 6
; COMPUTE_PGM_RSRC2:TRAP_HANDLER: 0
; COMPUTE_PGM_RSRC2:TGID_X_EN: 1
; COMPUTE_PGM_RSRC2:TGID_Y_EN: 0
; COMPUTE_PGM_RSRC2:TGID_Z_EN: 0
; COMPUTE_PGM_RSRC2:TIDIG_COMP_CNT: 0
	.section	.text._ZN9rocsparseL29bsrmmnt_small_blockdim_kernelILj64ELj8ELj2Eii21rocsparse_complex_numIdES2_S2_S2_EEv20rocsparse_direction_T3_S4_llNS_24const_host_device_scalarIT7_EEPKT2_PKS4_PKT4_PKT5_llS7_PT6_ll16rocsparse_order_21rocsparse_index_base_b,"axG",@progbits,_ZN9rocsparseL29bsrmmnt_small_blockdim_kernelILj64ELj8ELj2Eii21rocsparse_complex_numIdES2_S2_S2_EEv20rocsparse_direction_T3_S4_llNS_24const_host_device_scalarIT7_EEPKT2_PKS4_PKT4_PKT5_llS7_PT6_ll16rocsparse_order_21rocsparse_index_base_b,comdat
	.globl	_ZN9rocsparseL29bsrmmnt_small_blockdim_kernelILj64ELj8ELj2Eii21rocsparse_complex_numIdES2_S2_S2_EEv20rocsparse_direction_T3_S4_llNS_24const_host_device_scalarIT7_EEPKT2_PKS4_PKT4_PKT5_llS7_PT6_ll16rocsparse_order_21rocsparse_index_base_b ; -- Begin function _ZN9rocsparseL29bsrmmnt_small_blockdim_kernelILj64ELj8ELj2Eii21rocsparse_complex_numIdES2_S2_S2_EEv20rocsparse_direction_T3_S4_llNS_24const_host_device_scalarIT7_EEPKT2_PKS4_PKT4_PKT5_llS7_PT6_ll16rocsparse_order_21rocsparse_index_base_b
	.p2align	8
	.type	_ZN9rocsparseL29bsrmmnt_small_blockdim_kernelILj64ELj8ELj2Eii21rocsparse_complex_numIdES2_S2_S2_EEv20rocsparse_direction_T3_S4_llNS_24const_host_device_scalarIT7_EEPKT2_PKS4_PKT4_PKT5_llS7_PT6_ll16rocsparse_order_21rocsparse_index_base_b,@function
_ZN9rocsparseL29bsrmmnt_small_blockdim_kernelILj64ELj8ELj2Eii21rocsparse_complex_numIdES2_S2_S2_EEv20rocsparse_direction_T3_S4_llNS_24const_host_device_scalarIT7_EEPKT2_PKS4_PKT4_PKT5_llS7_PT6_ll16rocsparse_order_21rocsparse_index_base_b: ; @_ZN9rocsparseL29bsrmmnt_small_blockdim_kernelILj64ELj8ELj2Eii21rocsparse_complex_numIdES2_S2_S2_EEv20rocsparse_direction_T3_S4_llNS_24const_host_device_scalarIT7_EEPKT2_PKS4_PKT4_PKT5_llS7_PT6_ll16rocsparse_order_21rocsparse_index_base_b
; %bb.0:
	s_load_dwordx2 s[0:1], s[4:5], 0x20
	s_load_dwordx4 s[16:19], s[4:5], 0x88
	s_add_u32 s7, s4, 32
	s_addc_u32 s8, s5, 0
	s_add_u32 s9, s4, 0x60
	s_addc_u32 s10, s5, 0
	s_waitcnt lgkmcnt(0)
	s_bitcmp1_b32 s18, 0
	s_cselect_b32 s1, s8, s1
	s_cselect_b32 s0, s7, s0
	v_mov_b32_e32 v1, s0
	v_mov_b32_e32 v2, s1
	flat_load_dwordx4 v[1:4], v[1:2]
	s_load_dwordx2 s[2:3], s[4:5], 0x60
	s_waitcnt lgkmcnt(0)
	s_cselect_b32 s0, s10, s3
	s_cselect_b32 s1, s9, s2
	v_mov_b32_e32 v5, s1
	v_mov_b32_e32 v6, s0
	flat_load_dwordx4 v[5:8], v[5:6]
	s_waitcnt vmcnt(0)
	v_cmp_eq_f64_e32 vcc, 0, v[1:2]
	v_cmp_eq_f64_e64 s[0:1], 0, v[3:4]
	s_and_b64 s[8:9], vcc, s[0:1]
	s_mov_b64 s[0:1], -1
	s_and_saveexec_b64 s[2:3], s[8:9]
	s_cbranch_execz .LBB57_2
; %bb.1:
	s_waitcnt lgkmcnt(0)
	v_cmp_neq_f64_e32 vcc, 1.0, v[5:6]
	v_cmp_neq_f64_e64 s[0:1], 0, v[7:8]
	s_or_b64 s[0:1], vcc, s[0:1]
	s_orn2_b64 s[0:1], s[0:1], exec
.LBB57_2:
	s_or_b64 exec, exec, s[2:3]
	s_and_saveexec_b64 s[2:3], s[0:1]
	s_cbranch_execz .LBB57_27
; %bb.3:
	s_load_dword s0, s[4:5], 0xa4
	s_load_dwordx4 s[20:23], s[4:5], 0x0
	s_waitcnt lgkmcnt(0)
	s_and_b32 s0, s0, 0xffff
	s_mul_i32 s6, s6, s0
	v_add_u32_e32 v9, s6, v0
	v_lshrrev_b32_e32 v10, 4, v9
	v_cmp_gt_i32_e32 vcc, s21, v10
	s_and_b64 exec, exec, vcc
	s_cbranch_execz .LBB57_27
; %bb.4:
	s_cmp_lt_i32 s22, 1
	s_cbranch_scc1 .LBB57_27
; %bb.5:
	s_load_dwordx8 s[8:15], s[4:5], 0x30
	v_lshlrev_b32_e32 v10, 2, v10
	v_lshrrev_b32_e32 v16, 3, v9
	v_bfe_u32 v9, v9, 3, 1
	s_cmp_eq_u32 s20, 0
	s_waitcnt lgkmcnt(0)
	global_load_dwordx2 v[10:11], v10, s[8:9]
	s_load_dwordx4 s[24:27], s[4:5], 0x70
	s_load_dwordx2 s[6:7], s[4:5], 0x50
	v_lshlrev_b32_e32 v15, 1, v9
	v_or_b32_e32 v14, 2, v9
	v_or_b32_e32 v19, 1, v15
	s_cselect_b64 s[2:3], -1, 0
	v_and_b32_e32 v26, 7, v0
	v_lshrrev_b32_e32 v12, 3, v0
	v_mov_b32_e32 v0, 0xc00
	v_mov_b32_e32 v17, 0
	v_cndmask_b32_e64 v29, v9, v15, s[2:3]
	v_cndmask_b32_e64 v30, v14, v19, s[2:3]
	s_waitcnt lgkmcnt(0)
	v_mad_u64_u32 v[14:15], s[2:3], s26, v16, 0
	v_lshl_or_b32 v0, v12, 5, v0
	v_mul_u32_u24_e32 v27, 0x180, v12
	v_lshlrev_b64 v[12:13], 4, v[16:17]
	v_cmp_neq_f64_e32 vcc, 0, v[5:6]
	v_cmp_neq_f64_e64 s[0:1], 0, v[7:8]
	v_mov_b32_e32 v9, s25
	v_add_co_u32_e64 v31, s[2:3], s24, v12
	v_addc_co_u32_e64 v32, s[2:3], v9, v13, s[2:3]
	v_mov_b32_e32 v9, v15
	v_mul_u32_u24_e32 v18, 48, v26
	s_or_b64 s[4:5], vcc, s[0:1]
	v_mov_b32_e32 v19, s25
	s_cmp_lg_u32 s16, 1
	s_mov_b32 s23, 0
	v_lshl_or_b32 v28, v26, 2, v0
	s_cselect_b64 s[8:9], -1, 0
	v_add_u32_e32 v37, v27, v18
	s_waitcnt vmcnt(0)
	v_mad_u64_u32 v[12:13], s[2:3], s27, v16, v[9:10]
	v_subrev_u32_e32 v35, s17, v10
	v_subrev_u32_e32 v36, s17, v11
	v_mov_b32_e32 v15, v12
	v_lshlrev_b64 v[12:13], 4, v[14:15]
	v_cmp_lt_i32_e64 s[0:1], v10, v11
	v_add_co_u32_e32 v33, vcc, s24, v12
	v_addc_co_u32_e32 v34, vcc, v19, v13, vcc
	s_branch .LBB57_7
.LBB57_6:                               ;   in Loop: Header=BB57_7 Depth=1
	s_or_b64 exec, exec, s[2:3]
	s_add_i32 s23, s23, 8
	s_cmp_lt_i32 s23, s22
	s_cbranch_scc0 .LBB57_27
.LBB57_7:                               ; =>This Loop Header: Depth=1
                                        ;     Child Loop BB57_10 Depth 2
                                        ;       Child Loop BB57_14 Depth 3
	v_or_b32_e32 v18, s23, v26
	v_mov_b32_e32 v20, 0
	v_mov_b32_e32 v22, 0
	;; [unrolled: 1-line block ×4, first 2 shown]
	v_ashrrev_i32_e32 v19, 31, v18
	s_and_saveexec_b64 s[18:19], s[0:1]
	s_cbranch_execz .LBB57_16
; %bb.8:                                ;   in Loop: Header=BB57_7 Depth=1
	v_lshlrev_b64 v[9:10], 4, v[18:19]
	v_mov_b32_e32 v11, s15
	v_add_co_u32_e64 v38, s[2:3], s14, v9
	v_mov_b32_e32 v20, 0
	v_mov_b32_e32 v22, 0
	v_cmp_gt_i32_e32 vcc, s22, v18
	v_addc_co_u32_e64 v39, s[2:3], v11, v10, s[2:3]
	v_mov_b32_e32 v21, 0
	s_mov_b64 s[20:21], 0
	v_mov_b32_e32 v23, 0
	v_mov_b32_e32 v40, v35
	s_branch .LBB57_10
.LBB57_9:                               ;   in Loop: Header=BB57_10 Depth=2
	s_or_b64 exec, exec, s[24:25]
	v_add_u32_e32 v40, 8, v40
	v_cmp_ge_i32_e64 s[2:3], v40, v36
	s_or_b64 s[20:21], s[2:3], s[20:21]
	s_andn2_b64 exec, exec, s[20:21]
	s_cbranch_execz .LBB57_15
.LBB57_10:                              ;   Parent Loop BB57_7 Depth=1
                                        ; =>  This Loop Header: Depth=2
                                        ;       Child Loop BB57_14 Depth 3
	v_add_u32_e32 v24, v40, v26
	v_mov_b32_e32 v13, 0
	v_mov_b32_e32 v15, 0
	;; [unrolled: 1-line block ×4, first 2 shown]
	v_cmp_lt_i32_e64 s[2:3], v24, v36
	v_mov_b32_e32 v14, 0
	v_mov_b32_e32 v16, 0
	;; [unrolled: 1-line block ×5, first 2 shown]
	s_and_saveexec_b64 s[24:25], s[2:3]
	s_cbranch_execz .LBB57_12
; %bb.11:                               ;   in Loop: Header=BB57_10 Depth=2
	v_ashrrev_i32_e32 v25, 31, v24
	v_lshlrev_b64 v[9:10], 2, v[24:25]
	v_mov_b32_e32 v11, s11
	v_add_co_u32_e64 v9, s[2:3], s10, v9
	v_addc_co_u32_e64 v10, s[2:3], v11, v10, s[2:3]
	v_lshlrev_b32_e32 v11, 2, v24
	v_or_b32_e32 v16, v11, v29
	global_load_dword v43, v[9:10], off
	v_lshlrev_b64 v[9:10], 4, v[16:17]
	v_mov_b32_e32 v12, s13
	v_add_co_u32_e64 v24, s[2:3], s12, v9
	v_or_b32_e32 v16, v11, v30
	v_addc_co_u32_e64 v25, s[2:3], v12, v10, s[2:3]
	v_lshlrev_b64 v[9:10], 4, v[16:17]
	v_mov_b32_e32 v11, s13
	v_add_co_u32_e64 v41, s[2:3], s12, v9
	v_addc_co_u32_e64 v42, s[2:3], v11, v10, s[2:3]
	global_load_dwordx4 v[13:16], v[24:25], off
	global_load_dwordx4 v[9:12], v[41:42], off
	s_waitcnt vmcnt(2)
	v_subrev_u32_e32 v24, s17, v43
	v_lshlrev_b32_e32 v25, 1, v24
.LBB57_12:                              ;   in Loop: Header=BB57_10 Depth=2
	s_or_b64 exec, exec, s[24:25]
	ds_write_b32 v28, v25
	s_waitcnt vmcnt(1)
	ds_write_b128 v37, v[13:16]
	s_waitcnt vmcnt(0)
	ds_write_b128 v37, v[9:12] offset:16
	s_waitcnt lgkmcnt(0)
	; wave barrier
	s_and_saveexec_b64 s[24:25], vcc
	s_cbranch_execz .LBB57_9
; %bb.13:                               ;   in Loop: Header=BB57_10 Depth=2
	s_mov_b32 s16, 0
	v_mov_b32_e32 v9, v27
.LBB57_14:                              ;   Parent Loop BB57_7 Depth=1
                                        ;     Parent Loop BB57_10 Depth=2
                                        ; =>    This Inner Loop Header: Depth=3
	v_add_u32_e32 v10, s16, v0
	ds_read_b64 v[13:14], v10
	s_add_i32 s16, s16, 8
	s_cmp_lg_u32 s16, 32
	s_waitcnt lgkmcnt(0)
	v_ashrrev_i32_e32 v12, 31, v13
	v_mul_lo_u32 v15, s7, v13
	v_mad_u64_u32 v[10:11], s[2:3], s6, v13, 0
	v_mul_lo_u32 v12, s6, v12
	v_add_u32_e32 v16, 1, v13
	v_ashrrev_i32_e32 v25, 31, v16
	v_mul_lo_u32 v41, s7, v16
	v_add3_u32 v11, v11, v12, v15
	v_lshlrev_b64 v[10:11], 4, v[10:11]
	v_mul_lo_u32 v25, s6, v25
	v_add_co_u32_e64 v10, s[2:3], v38, v10
	v_addc_co_u32_e64 v11, s[2:3], v39, v11, s[2:3]
	global_load_dwordx4 v[10:13], v[10:11], off
	v_mad_u64_u32 v[15:16], s[2:3], s6, v16, 0
	v_ashrrev_i32_e32 v24, 31, v14
	v_add_u32_e32 v49, 1, v14
	v_add3_u32 v16, v16, v25, v41
	v_lshlrev_b64 v[15:16], 4, v[15:16]
	v_mul_lo_u32 v25, s7, v14
	v_add_co_u32_e64 v15, s[2:3], v38, v15
	v_addc_co_u32_e64 v16, s[2:3], v39, v16, s[2:3]
	global_load_dwordx4 v[41:44], v[15:16], off
	v_mad_u64_u32 v[15:16], s[2:3], s6, v14, 0
	v_mul_lo_u32 v14, s6, v24
	v_mul_lo_u32 v24, s7, v49
	v_add3_u32 v16, v16, v14, v25
	v_lshlrev_b64 v[14:15], 4, v[15:16]
	v_ashrrev_i32_e32 v16, 31, v49
	v_add_co_u32_e64 v14, s[2:3], v38, v14
	v_addc_co_u32_e64 v15, s[2:3], v39, v15, s[2:3]
	global_load_dwordx4 v[45:48], v[14:15], off
	v_mad_u64_u32 v[14:15], s[2:3], s6, v49, 0
	v_mul_lo_u32 v16, s6, v16
	v_add3_u32 v15, v15, v16, v24
	v_lshlrev_b64 v[14:15], 4, v[14:15]
	v_add_co_u32_e64 v14, s[2:3], v38, v14
	v_addc_co_u32_e64 v15, s[2:3], v39, v15, s[2:3]
	global_load_dwordx4 v[49:52], v[14:15], off
	ds_read_b128 v[53:56], v9
	ds_read_b128 v[57:60], v9 offset:16
	s_waitcnt vmcnt(3) lgkmcnt(1)
	v_fma_f64 v[14:15], v[53:54], v[10:11], v[22:23]
	v_fma_f64 v[10:11], v[55:56], v[10:11], v[20:21]
	v_fma_f64 v[14:15], -v[55:56], v[12:13], v[14:15]
	v_fma_f64 v[10:11], v[53:54], v[12:13], v[10:11]
	s_waitcnt vmcnt(2) lgkmcnt(0)
	v_fma_f64 v[12:13], v[57:58], v[41:42], v[14:15]
	v_fma_f64 v[10:11], v[59:60], v[41:42], v[10:11]
	v_fma_f64 v[14:15], -v[59:60], v[43:44], v[12:13]
	v_fma_f64 v[24:25], v[57:58], v[43:44], v[10:11]
	ds_read_b128 v[10:13], v9 offset:48
	ds_read_b128 v[20:23], v9 offset:64
	v_add_u32_e32 v9, 0x60, v9
	s_waitcnt vmcnt(1) lgkmcnt(1)
	v_fma_f64 v[14:15], v[10:11], v[45:46], v[14:15]
	v_fma_f64 v[24:25], v[12:13], v[45:46], v[24:25]
	v_fma_f64 v[12:13], -v[12:13], v[47:48], v[14:15]
	v_fma_f64 v[10:11], v[10:11], v[47:48], v[24:25]
	s_waitcnt vmcnt(0) lgkmcnt(0)
	v_fma_f64 v[12:13], v[20:21], v[49:50], v[12:13]
	v_fma_f64 v[10:11], v[22:23], v[49:50], v[10:11]
	v_fma_f64 v[22:23], -v[22:23], v[51:52], v[12:13]
	v_fma_f64 v[20:21], v[20:21], v[51:52], v[10:11]
	s_cbranch_scc1 .LBB57_14
	s_branch .LBB57_9
.LBB57_15:                              ;   in Loop: Header=BB57_7 Depth=1
	s_or_b64 exec, exec, s[20:21]
.LBB57_16:                              ;   in Loop: Header=BB57_7 Depth=1
	s_or_b64 exec, exec, s[18:19]
	v_cmp_gt_i32_e32 vcc, s22, v18
	s_and_saveexec_b64 s[2:3], vcc
	s_cbranch_execz .LBB57_6
; %bb.17:                               ;   in Loop: Header=BB57_7 Depth=1
	s_and_saveexec_b64 s[18:19], s[4:5]
	s_xor_b64 s[18:19], exec, s[18:19]
	s_cbranch_execz .LBB57_22
; %bb.18:                               ;   in Loop: Header=BB57_7 Depth=1
	s_mov_b64 s[20:21], -1
	s_and_b64 vcc, exec, s[8:9]
	s_cbranch_vccz .LBB57_20
; %bb.19:                               ;   in Loop: Header=BB57_7 Depth=1
	v_lshlrev_b64 v[9:10], 4, v[18:19]
	v_mul_f64 v[15:16], v[20:21], -v[3:4]
	v_add_co_u32_e32 v13, vcc, v33, v9
	v_addc_co_u32_e32 v14, vcc, v34, v10, vcc
	global_load_dwordx4 v[9:12], v[13:14], off
	v_mul_f64 v[24:25], v[1:2], v[20:21]
	s_mov_b64 s[20:21], 0
	v_fma_f64 v[15:16], v[1:2], v[22:23], v[15:16]
	v_fma_f64 v[24:25], v[3:4], v[22:23], v[24:25]
	s_waitcnt vmcnt(0)
	v_fma_f64 v[15:16], v[5:6], v[9:10], v[15:16]
	v_fma_f64 v[24:25], v[7:8], v[9:10], v[24:25]
	v_fma_f64 v[9:10], -v[7:8], v[11:12], v[15:16]
	v_fma_f64 v[11:12], v[5:6], v[11:12], v[24:25]
	global_store_dwordx4 v[13:14], v[9:12], off
.LBB57_20:                              ;   in Loop: Header=BB57_7 Depth=1
	s_andn2_b64 vcc, exec, s[20:21]
	s_cbranch_vccnz .LBB57_22
; %bb.21:                               ;   in Loop: Header=BB57_7 Depth=1
	v_mul_lo_u32 v11, s27, v18
	v_mul_lo_u32 v12, s26, v19
	v_mad_u64_u32 v[9:10], s[20:21], s26, v18, 0
	v_mul_f64 v[15:16], v[20:21], -v[3:4]
	v_mul_f64 v[18:19], v[1:2], v[20:21]
	v_add3_u32 v10, v10, v12, v11
	v_lshlrev_b64 v[9:10], 4, v[9:10]
                                        ; implicit-def: $vgpr20_vgpr21
	v_add_co_u32_e32 v13, vcc, v31, v9
	v_addc_co_u32_e32 v14, vcc, v32, v10, vcc
	global_load_dwordx4 v[9:12], v[13:14], off
	v_fma_f64 v[15:16], v[1:2], v[22:23], v[15:16]
	v_fma_f64 v[18:19], v[3:4], v[22:23], v[18:19]
                                        ; implicit-def: $vgpr22_vgpr23
	s_waitcnt vmcnt(0)
	v_fma_f64 v[15:16], v[5:6], v[9:10], v[15:16]
	v_fma_f64 v[18:19], v[7:8], v[9:10], v[18:19]
	v_fma_f64 v[9:10], -v[7:8], v[11:12], v[15:16]
	v_fma_f64 v[11:12], v[5:6], v[11:12], v[18:19]
                                        ; implicit-def: $vgpr18
	global_store_dwordx4 v[13:14], v[9:12], off
.LBB57_22:                              ;   in Loop: Header=BB57_7 Depth=1
	s_andn2_saveexec_b64 s[18:19], s[18:19]
	s_cbranch_execz .LBB57_6
; %bb.23:                               ;   in Loop: Header=BB57_7 Depth=1
	v_mul_f64 v[9:10], v[20:21], -v[3:4]
	v_mul_f64 v[11:12], v[1:2], v[20:21]
	s_mov_b64 s[18:19], -1
	s_and_b64 vcc, exec, s[8:9]
	v_fma_f64 v[9:10], v[1:2], v[22:23], v[9:10]
	v_fma_f64 v[11:12], v[3:4], v[22:23], v[11:12]
	s_cbranch_vccz .LBB57_25
; %bb.24:                               ;   in Loop: Header=BB57_7 Depth=1
	v_lshlrev_b64 v[13:14], 4, v[18:19]
	s_mov_b64 s[18:19], 0
	v_add_co_u32_e32 v13, vcc, v33, v13
	v_addc_co_u32_e32 v14, vcc, v34, v14, vcc
	global_store_dwordx4 v[13:14], v[9:12], off
.LBB57_25:                              ;   in Loop: Header=BB57_7 Depth=1
	s_andn2_b64 vcc, exec, s[18:19]
	s_cbranch_vccnz .LBB57_6
; %bb.26:                               ;   in Loop: Header=BB57_7 Depth=1
	v_mul_lo_u32 v15, s27, v18
	v_mul_lo_u32 v16, s26, v19
	v_mad_u64_u32 v[13:14], s[18:19], s26, v18, 0
	v_add3_u32 v14, v14, v16, v15
	v_lshlrev_b64 v[13:14], 4, v[13:14]
	v_add_co_u32_e32 v13, vcc, v31, v13
	v_addc_co_u32_e32 v14, vcc, v32, v14, vcc
	global_store_dwordx4 v[13:14], v[9:12], off
	s_branch .LBB57_6
.LBB57_27:
	s_endpgm
	.section	.rodata,"a",@progbits
	.p2align	6, 0x0
	.amdhsa_kernel _ZN9rocsparseL29bsrmmnt_small_blockdim_kernelILj64ELj8ELj2Eii21rocsparse_complex_numIdES2_S2_S2_EEv20rocsparse_direction_T3_S4_llNS_24const_host_device_scalarIT7_EEPKT2_PKS4_PKT4_PKT5_llS7_PT6_ll16rocsparse_order_21rocsparse_index_base_b
		.amdhsa_group_segment_fixed_size 3328
		.amdhsa_private_segment_fixed_size 0
		.amdhsa_kernarg_size 408
		.amdhsa_user_sgpr_count 6
		.amdhsa_user_sgpr_private_segment_buffer 1
		.amdhsa_user_sgpr_dispatch_ptr 0
		.amdhsa_user_sgpr_queue_ptr 0
		.amdhsa_user_sgpr_kernarg_segment_ptr 1
		.amdhsa_user_sgpr_dispatch_id 0
		.amdhsa_user_sgpr_flat_scratch_init 0
		.amdhsa_user_sgpr_private_segment_size 0
		.amdhsa_uses_dynamic_stack 0
		.amdhsa_system_sgpr_private_segment_wavefront_offset 0
		.amdhsa_system_sgpr_workgroup_id_x 1
		.amdhsa_system_sgpr_workgroup_id_y 0
		.amdhsa_system_sgpr_workgroup_id_z 0
		.amdhsa_system_sgpr_workgroup_info 0
		.amdhsa_system_vgpr_workitem_id 0
		.amdhsa_next_free_vgpr 61
		.amdhsa_next_free_sgpr 98
		.amdhsa_reserve_vcc 1
		.amdhsa_reserve_flat_scratch 0
		.amdhsa_float_round_mode_32 0
		.amdhsa_float_round_mode_16_64 0
		.amdhsa_float_denorm_mode_32 3
		.amdhsa_float_denorm_mode_16_64 3
		.amdhsa_dx10_clamp 1
		.amdhsa_ieee_mode 1
		.amdhsa_fp16_overflow 0
		.amdhsa_exception_fp_ieee_invalid_op 0
		.amdhsa_exception_fp_denorm_src 0
		.amdhsa_exception_fp_ieee_div_zero 0
		.amdhsa_exception_fp_ieee_overflow 0
		.amdhsa_exception_fp_ieee_underflow 0
		.amdhsa_exception_fp_ieee_inexact 0
		.amdhsa_exception_int_div_zero 0
	.end_amdhsa_kernel
	.section	.text._ZN9rocsparseL29bsrmmnt_small_blockdim_kernelILj64ELj8ELj2Eii21rocsparse_complex_numIdES2_S2_S2_EEv20rocsparse_direction_T3_S4_llNS_24const_host_device_scalarIT7_EEPKT2_PKS4_PKT4_PKT5_llS7_PT6_ll16rocsparse_order_21rocsparse_index_base_b,"axG",@progbits,_ZN9rocsparseL29bsrmmnt_small_blockdim_kernelILj64ELj8ELj2Eii21rocsparse_complex_numIdES2_S2_S2_EEv20rocsparse_direction_T3_S4_llNS_24const_host_device_scalarIT7_EEPKT2_PKS4_PKT4_PKT5_llS7_PT6_ll16rocsparse_order_21rocsparse_index_base_b,comdat
.Lfunc_end57:
	.size	_ZN9rocsparseL29bsrmmnt_small_blockdim_kernelILj64ELj8ELj2Eii21rocsparse_complex_numIdES2_S2_S2_EEv20rocsparse_direction_T3_S4_llNS_24const_host_device_scalarIT7_EEPKT2_PKS4_PKT4_PKT5_llS7_PT6_ll16rocsparse_order_21rocsparse_index_base_b, .Lfunc_end57-_ZN9rocsparseL29bsrmmnt_small_blockdim_kernelILj64ELj8ELj2Eii21rocsparse_complex_numIdES2_S2_S2_EEv20rocsparse_direction_T3_S4_llNS_24const_host_device_scalarIT7_EEPKT2_PKS4_PKT4_PKT5_llS7_PT6_ll16rocsparse_order_21rocsparse_index_base_b
                                        ; -- End function
	.set _ZN9rocsparseL29bsrmmnt_small_blockdim_kernelILj64ELj8ELj2Eii21rocsparse_complex_numIdES2_S2_S2_EEv20rocsparse_direction_T3_S4_llNS_24const_host_device_scalarIT7_EEPKT2_PKS4_PKT4_PKT5_llS7_PT6_ll16rocsparse_order_21rocsparse_index_base_b.num_vgpr, 61
	.set _ZN9rocsparseL29bsrmmnt_small_blockdim_kernelILj64ELj8ELj2Eii21rocsparse_complex_numIdES2_S2_S2_EEv20rocsparse_direction_T3_S4_llNS_24const_host_device_scalarIT7_EEPKT2_PKS4_PKT4_PKT5_llS7_PT6_ll16rocsparse_order_21rocsparse_index_base_b.num_agpr, 0
	.set _ZN9rocsparseL29bsrmmnt_small_blockdim_kernelILj64ELj8ELj2Eii21rocsparse_complex_numIdES2_S2_S2_EEv20rocsparse_direction_T3_S4_llNS_24const_host_device_scalarIT7_EEPKT2_PKS4_PKT4_PKT5_llS7_PT6_ll16rocsparse_order_21rocsparse_index_base_b.numbered_sgpr, 28
	.set _ZN9rocsparseL29bsrmmnt_small_blockdim_kernelILj64ELj8ELj2Eii21rocsparse_complex_numIdES2_S2_S2_EEv20rocsparse_direction_T3_S4_llNS_24const_host_device_scalarIT7_EEPKT2_PKS4_PKT4_PKT5_llS7_PT6_ll16rocsparse_order_21rocsparse_index_base_b.num_named_barrier, 0
	.set _ZN9rocsparseL29bsrmmnt_small_blockdim_kernelILj64ELj8ELj2Eii21rocsparse_complex_numIdES2_S2_S2_EEv20rocsparse_direction_T3_S4_llNS_24const_host_device_scalarIT7_EEPKT2_PKS4_PKT4_PKT5_llS7_PT6_ll16rocsparse_order_21rocsparse_index_base_b.private_seg_size, 0
	.set _ZN9rocsparseL29bsrmmnt_small_blockdim_kernelILj64ELj8ELj2Eii21rocsparse_complex_numIdES2_S2_S2_EEv20rocsparse_direction_T3_S4_llNS_24const_host_device_scalarIT7_EEPKT2_PKS4_PKT4_PKT5_llS7_PT6_ll16rocsparse_order_21rocsparse_index_base_b.uses_vcc, 1
	.set _ZN9rocsparseL29bsrmmnt_small_blockdim_kernelILj64ELj8ELj2Eii21rocsparse_complex_numIdES2_S2_S2_EEv20rocsparse_direction_T3_S4_llNS_24const_host_device_scalarIT7_EEPKT2_PKS4_PKT4_PKT5_llS7_PT6_ll16rocsparse_order_21rocsparse_index_base_b.uses_flat_scratch, 0
	.set _ZN9rocsparseL29bsrmmnt_small_blockdim_kernelILj64ELj8ELj2Eii21rocsparse_complex_numIdES2_S2_S2_EEv20rocsparse_direction_T3_S4_llNS_24const_host_device_scalarIT7_EEPKT2_PKS4_PKT4_PKT5_llS7_PT6_ll16rocsparse_order_21rocsparse_index_base_b.has_dyn_sized_stack, 0
	.set _ZN9rocsparseL29bsrmmnt_small_blockdim_kernelILj64ELj8ELj2Eii21rocsparse_complex_numIdES2_S2_S2_EEv20rocsparse_direction_T3_S4_llNS_24const_host_device_scalarIT7_EEPKT2_PKS4_PKT4_PKT5_llS7_PT6_ll16rocsparse_order_21rocsparse_index_base_b.has_recursion, 0
	.set _ZN9rocsparseL29bsrmmnt_small_blockdim_kernelILj64ELj8ELj2Eii21rocsparse_complex_numIdES2_S2_S2_EEv20rocsparse_direction_T3_S4_llNS_24const_host_device_scalarIT7_EEPKT2_PKS4_PKT4_PKT5_llS7_PT6_ll16rocsparse_order_21rocsparse_index_base_b.has_indirect_call, 0
	.section	.AMDGPU.csdata,"",@progbits
; Kernel info:
; codeLenInByte = 1820
; TotalNumSgprs: 32
; NumVgprs: 61
; ScratchSize: 0
; MemoryBound: 0
; FloatMode: 240
; IeeeMode: 1
; LDSByteSize: 3328 bytes/workgroup (compile time only)
; SGPRBlocks: 12
; VGPRBlocks: 15
; NumSGPRsForWavesPerEU: 102
; NumVGPRsForWavesPerEU: 61
; Occupancy: 4
; WaveLimiterHint : 0
; COMPUTE_PGM_RSRC2:SCRATCH_EN: 0
; COMPUTE_PGM_RSRC2:USER_SGPR: 6
; COMPUTE_PGM_RSRC2:TRAP_HANDLER: 0
; COMPUTE_PGM_RSRC2:TGID_X_EN: 1
; COMPUTE_PGM_RSRC2:TGID_Y_EN: 0
; COMPUTE_PGM_RSRC2:TGID_Z_EN: 0
; COMPUTE_PGM_RSRC2:TIDIG_COMP_CNT: 0
	.section	.text._ZN9rocsparseL29bsrmmnt_small_blockdim_kernelILj64ELj16ELj2Eii21rocsparse_complex_numIdES2_S2_S2_EEv20rocsparse_direction_T3_S4_llNS_24const_host_device_scalarIT7_EEPKT2_PKS4_PKT4_PKT5_llS7_PT6_ll16rocsparse_order_21rocsparse_index_base_b,"axG",@progbits,_ZN9rocsparseL29bsrmmnt_small_blockdim_kernelILj64ELj16ELj2Eii21rocsparse_complex_numIdES2_S2_S2_EEv20rocsparse_direction_T3_S4_llNS_24const_host_device_scalarIT7_EEPKT2_PKS4_PKT4_PKT5_llS7_PT6_ll16rocsparse_order_21rocsparse_index_base_b,comdat
	.globl	_ZN9rocsparseL29bsrmmnt_small_blockdim_kernelILj64ELj16ELj2Eii21rocsparse_complex_numIdES2_S2_S2_EEv20rocsparse_direction_T3_S4_llNS_24const_host_device_scalarIT7_EEPKT2_PKS4_PKT4_PKT5_llS7_PT6_ll16rocsparse_order_21rocsparse_index_base_b ; -- Begin function _ZN9rocsparseL29bsrmmnt_small_blockdim_kernelILj64ELj16ELj2Eii21rocsparse_complex_numIdES2_S2_S2_EEv20rocsparse_direction_T3_S4_llNS_24const_host_device_scalarIT7_EEPKT2_PKS4_PKT4_PKT5_llS7_PT6_ll16rocsparse_order_21rocsparse_index_base_b
	.p2align	8
	.type	_ZN9rocsparseL29bsrmmnt_small_blockdim_kernelILj64ELj16ELj2Eii21rocsparse_complex_numIdES2_S2_S2_EEv20rocsparse_direction_T3_S4_llNS_24const_host_device_scalarIT7_EEPKT2_PKS4_PKT4_PKT5_llS7_PT6_ll16rocsparse_order_21rocsparse_index_base_b,@function
_ZN9rocsparseL29bsrmmnt_small_blockdim_kernelILj64ELj16ELj2Eii21rocsparse_complex_numIdES2_S2_S2_EEv20rocsparse_direction_T3_S4_llNS_24const_host_device_scalarIT7_EEPKT2_PKS4_PKT4_PKT5_llS7_PT6_ll16rocsparse_order_21rocsparse_index_base_b: ; @_ZN9rocsparseL29bsrmmnt_small_blockdim_kernelILj64ELj16ELj2Eii21rocsparse_complex_numIdES2_S2_S2_EEv20rocsparse_direction_T3_S4_llNS_24const_host_device_scalarIT7_EEPKT2_PKS4_PKT4_PKT5_llS7_PT6_ll16rocsparse_order_21rocsparse_index_base_b
; %bb.0:
	s_load_dwordx2 s[0:1], s[4:5], 0x20
	s_load_dwordx4 s[16:19], s[4:5], 0x88
	s_add_u32 s7, s4, 32
	s_addc_u32 s8, s5, 0
	s_add_u32 s9, s4, 0x60
	s_addc_u32 s10, s5, 0
	s_waitcnt lgkmcnt(0)
	s_bitcmp1_b32 s18, 0
	s_cselect_b32 s1, s8, s1
	s_cselect_b32 s0, s7, s0
	v_mov_b32_e32 v1, s0
	v_mov_b32_e32 v2, s1
	flat_load_dwordx4 v[1:4], v[1:2]
	s_load_dwordx2 s[2:3], s[4:5], 0x60
	s_waitcnt lgkmcnt(0)
	s_cselect_b32 s0, s10, s3
	s_cselect_b32 s1, s9, s2
	v_mov_b32_e32 v5, s1
	v_mov_b32_e32 v6, s0
	flat_load_dwordx4 v[5:8], v[5:6]
	s_waitcnt vmcnt(0)
	v_cmp_eq_f64_e32 vcc, 0, v[1:2]
	v_cmp_eq_f64_e64 s[0:1], 0, v[3:4]
	s_and_b64 s[8:9], vcc, s[0:1]
	s_mov_b64 s[0:1], -1
	s_and_saveexec_b64 s[2:3], s[8:9]
	s_cbranch_execz .LBB58_2
; %bb.1:
	s_waitcnt lgkmcnt(0)
	v_cmp_neq_f64_e32 vcc, 1.0, v[5:6]
	v_cmp_neq_f64_e64 s[0:1], 0, v[7:8]
	s_or_b64 s[0:1], vcc, s[0:1]
	s_orn2_b64 s[0:1], s[0:1], exec
.LBB58_2:
	s_or_b64 exec, exec, s[2:3]
	s_and_saveexec_b64 s[2:3], s[0:1]
	s_cbranch_execz .LBB58_27
; %bb.3:
	s_load_dword s0, s[4:5], 0xa4
	s_load_dwordx4 s[20:23], s[4:5], 0x0
	s_waitcnt lgkmcnt(0)
	s_and_b32 s0, s0, 0xffff
	s_mul_i32 s6, s6, s0
	v_add_u32_e32 v9, s6, v0
	v_lshrrev_b32_e32 v10, 5, v9
	v_cmp_gt_i32_e32 vcc, s21, v10
	s_and_b64 exec, exec, vcc
	s_cbranch_execz .LBB58_27
; %bb.4:
	s_cmp_lt_i32 s22, 1
	s_cbranch_scc1 .LBB58_27
; %bb.5:
	s_load_dwordx8 s[8:15], s[4:5], 0x30
	v_lshlrev_b32_e32 v10, 2, v10
	v_bfe_u32 v12, v9, 4, 1
	v_and_b32_e32 v26, 15, v0
	v_lshrrev_b32_e32 v13, 4, v0
	s_waitcnt lgkmcnt(0)
	global_load_dwordx2 v[10:11], v10, s[8:9]
	s_load_dwordx4 s[24:27], s[4:5], 0x70
	s_load_dwordx2 s[6:7], s[4:5], 0x50
	v_mov_b32_e32 v0, 0xc00
	s_cmp_eq_u32 s20, 0
	v_lshl_or_b32 v0, v13, 6, v0
	v_mul_u32_u24_e32 v27, 0x300, v13
	v_lshlrev_b32_e32 v13, 1, v12
	v_lshrrev_b32_e32 v14, 4, v9
	v_or_b32_e32 v15, 2, v12
	v_or_b32_e32 v18, 1, v13
	s_cselect_b64 s[2:3], -1, 0
	v_cndmask_b32_e64 v29, v12, v13, s[2:3]
	v_cndmask_b32_e64 v30, v15, v18, s[2:3]
	s_waitcnt lgkmcnt(0)
	v_mad_u64_u32 v[12:13], s[2:3], s26, v14, 0
	v_cmp_neq_f64_e32 vcc, 0, v[5:6]
	v_cmp_neq_f64_e64 s[0:1], 0, v[7:8]
	v_and_b32_e32 v9, -16, v9
	v_mov_b32_e32 v18, s25
	v_add_co_u32_e64 v31, s[2:3], s24, v9
	v_mov_b32_e32 v9, v13
	v_addc_co_u32_e64 v32, s[2:3], 0, v18, s[2:3]
	s_or_b64 s[4:5], vcc, s[0:1]
	v_mul_u32_u24_e32 v16, 48, v26
	v_mov_b32_e32 v15, s25
	s_cmp_lg_u32 s16, 1
	s_mov_b32 s23, 0
	v_mov_b32_e32 v17, 0
	v_lshl_or_b32 v28, v26, 2, v0
	s_cselect_b64 s[8:9], -1, 0
	v_add_u32_e32 v37, v27, v16
	s_waitcnt vmcnt(0)
	v_mad_u64_u32 v[13:14], s[2:3], s27, v14, v[9:10]
	v_subrev_u32_e32 v35, s17, v10
	v_subrev_u32_e32 v36, s17, v11
	v_lshlrev_b64 v[12:13], 4, v[12:13]
	v_cmp_lt_i32_e64 s[0:1], v10, v11
	v_add_co_u32_e32 v33, vcc, s24, v12
	v_addc_co_u32_e32 v34, vcc, v15, v13, vcc
	s_branch .LBB58_7
.LBB58_6:                               ;   in Loop: Header=BB58_7 Depth=1
	s_or_b64 exec, exec, s[2:3]
	s_add_i32 s23, s23, 16
	s_cmp_lt_i32 s23, s22
	s_cbranch_scc0 .LBB58_27
.LBB58_7:                               ; =>This Loop Header: Depth=1
                                        ;     Child Loop BB58_10 Depth 2
                                        ;       Child Loop BB58_14 Depth 3
	v_or_b32_e32 v18, s23, v26
	v_mov_b32_e32 v20, 0
	v_mov_b32_e32 v22, 0
	;; [unrolled: 1-line block ×4, first 2 shown]
	v_ashrrev_i32_e32 v19, 31, v18
	s_and_saveexec_b64 s[18:19], s[0:1]
	s_cbranch_execz .LBB58_16
; %bb.8:                                ;   in Loop: Header=BB58_7 Depth=1
	v_lshlrev_b64 v[9:10], 4, v[18:19]
	v_mov_b32_e32 v11, s15
	v_add_co_u32_e64 v38, s[2:3], s14, v9
	v_mov_b32_e32 v20, 0
	v_mov_b32_e32 v22, 0
	v_cmp_gt_i32_e32 vcc, s22, v18
	v_addc_co_u32_e64 v39, s[2:3], v11, v10, s[2:3]
	v_mov_b32_e32 v21, 0
	s_mov_b64 s[20:21], 0
	v_mov_b32_e32 v23, 0
	v_mov_b32_e32 v40, v35
	s_branch .LBB58_10
.LBB58_9:                               ;   in Loop: Header=BB58_10 Depth=2
	s_or_b64 exec, exec, s[24:25]
	v_add_u32_e32 v40, 16, v40
	v_cmp_ge_i32_e64 s[2:3], v40, v36
	s_or_b64 s[20:21], s[2:3], s[20:21]
	s_andn2_b64 exec, exec, s[20:21]
	s_cbranch_execz .LBB58_15
.LBB58_10:                              ;   Parent Loop BB58_7 Depth=1
                                        ; =>  This Loop Header: Depth=2
                                        ;       Child Loop BB58_14 Depth 3
	v_add_u32_e32 v24, v40, v26
	v_mov_b32_e32 v13, 0
	v_mov_b32_e32 v15, 0
	;; [unrolled: 1-line block ×4, first 2 shown]
	v_cmp_lt_i32_e64 s[2:3], v24, v36
	v_mov_b32_e32 v14, 0
	v_mov_b32_e32 v16, 0
	;; [unrolled: 1-line block ×5, first 2 shown]
	s_and_saveexec_b64 s[24:25], s[2:3]
	s_cbranch_execz .LBB58_12
; %bb.11:                               ;   in Loop: Header=BB58_10 Depth=2
	v_ashrrev_i32_e32 v25, 31, v24
	v_lshlrev_b64 v[9:10], 2, v[24:25]
	v_mov_b32_e32 v11, s11
	v_add_co_u32_e64 v9, s[2:3], s10, v9
	v_addc_co_u32_e64 v10, s[2:3], v11, v10, s[2:3]
	v_lshlrev_b32_e32 v11, 2, v24
	v_or_b32_e32 v16, v11, v29
	global_load_dword v43, v[9:10], off
	v_lshlrev_b64 v[9:10], 4, v[16:17]
	v_mov_b32_e32 v12, s13
	v_add_co_u32_e64 v24, s[2:3], s12, v9
	v_or_b32_e32 v16, v11, v30
	v_addc_co_u32_e64 v25, s[2:3], v12, v10, s[2:3]
	v_lshlrev_b64 v[9:10], 4, v[16:17]
	v_mov_b32_e32 v11, s13
	v_add_co_u32_e64 v41, s[2:3], s12, v9
	v_addc_co_u32_e64 v42, s[2:3], v11, v10, s[2:3]
	global_load_dwordx4 v[13:16], v[24:25], off
	global_load_dwordx4 v[9:12], v[41:42], off
	s_waitcnt vmcnt(2)
	v_subrev_u32_e32 v24, s17, v43
	v_lshlrev_b32_e32 v25, 1, v24
.LBB58_12:                              ;   in Loop: Header=BB58_10 Depth=2
	s_or_b64 exec, exec, s[24:25]
	ds_write_b32 v28, v25
	s_waitcnt vmcnt(1)
	ds_write_b128 v37, v[13:16]
	s_waitcnt vmcnt(0)
	ds_write_b128 v37, v[9:12] offset:16
	s_waitcnt lgkmcnt(0)
	; wave barrier
	s_and_saveexec_b64 s[24:25], vcc
	s_cbranch_execz .LBB58_9
; %bb.13:                               ;   in Loop: Header=BB58_10 Depth=2
	s_mov_b32 s16, 0
	v_mov_b32_e32 v9, v27
.LBB58_14:                              ;   Parent Loop BB58_7 Depth=1
                                        ;     Parent Loop BB58_10 Depth=2
                                        ; =>    This Inner Loop Header: Depth=3
	v_add_u32_e32 v10, s16, v0
	ds_read_b64 v[13:14], v10
	s_add_i32 s16, s16, 8
	s_cmp_lg_u32 s16, 64
	s_waitcnt lgkmcnt(0)
	v_ashrrev_i32_e32 v12, 31, v13
	v_mul_lo_u32 v15, s7, v13
	v_mad_u64_u32 v[10:11], s[2:3], s6, v13, 0
	v_mul_lo_u32 v12, s6, v12
	v_add_u32_e32 v16, 1, v13
	v_ashrrev_i32_e32 v25, 31, v16
	v_mul_lo_u32 v41, s7, v16
	v_add3_u32 v11, v11, v12, v15
	v_lshlrev_b64 v[10:11], 4, v[10:11]
	v_mul_lo_u32 v25, s6, v25
	v_add_co_u32_e64 v10, s[2:3], v38, v10
	v_addc_co_u32_e64 v11, s[2:3], v39, v11, s[2:3]
	global_load_dwordx4 v[10:13], v[10:11], off
	v_mad_u64_u32 v[15:16], s[2:3], s6, v16, 0
	v_ashrrev_i32_e32 v24, 31, v14
	v_add_u32_e32 v49, 1, v14
	v_add3_u32 v16, v16, v25, v41
	v_lshlrev_b64 v[15:16], 4, v[15:16]
	v_mul_lo_u32 v25, s7, v14
	v_add_co_u32_e64 v15, s[2:3], v38, v15
	v_addc_co_u32_e64 v16, s[2:3], v39, v16, s[2:3]
	global_load_dwordx4 v[41:44], v[15:16], off
	v_mad_u64_u32 v[15:16], s[2:3], s6, v14, 0
	v_mul_lo_u32 v14, s6, v24
	v_mul_lo_u32 v24, s7, v49
	v_add3_u32 v16, v16, v14, v25
	v_lshlrev_b64 v[14:15], 4, v[15:16]
	v_ashrrev_i32_e32 v16, 31, v49
	v_add_co_u32_e64 v14, s[2:3], v38, v14
	v_addc_co_u32_e64 v15, s[2:3], v39, v15, s[2:3]
	global_load_dwordx4 v[45:48], v[14:15], off
	v_mad_u64_u32 v[14:15], s[2:3], s6, v49, 0
	v_mul_lo_u32 v16, s6, v16
	v_add3_u32 v15, v15, v16, v24
	v_lshlrev_b64 v[14:15], 4, v[14:15]
	v_add_co_u32_e64 v14, s[2:3], v38, v14
	v_addc_co_u32_e64 v15, s[2:3], v39, v15, s[2:3]
	global_load_dwordx4 v[49:52], v[14:15], off
	ds_read_b128 v[53:56], v9
	ds_read_b128 v[57:60], v9 offset:16
	s_waitcnt vmcnt(3) lgkmcnt(1)
	v_fma_f64 v[14:15], v[53:54], v[10:11], v[22:23]
	v_fma_f64 v[10:11], v[55:56], v[10:11], v[20:21]
	v_fma_f64 v[14:15], -v[55:56], v[12:13], v[14:15]
	v_fma_f64 v[10:11], v[53:54], v[12:13], v[10:11]
	s_waitcnt vmcnt(2) lgkmcnt(0)
	v_fma_f64 v[12:13], v[57:58], v[41:42], v[14:15]
	v_fma_f64 v[10:11], v[59:60], v[41:42], v[10:11]
	v_fma_f64 v[14:15], -v[59:60], v[43:44], v[12:13]
	v_fma_f64 v[24:25], v[57:58], v[43:44], v[10:11]
	ds_read_b128 v[10:13], v9 offset:48
	ds_read_b128 v[20:23], v9 offset:64
	v_add_u32_e32 v9, 0x60, v9
	s_waitcnt vmcnt(1) lgkmcnt(1)
	v_fma_f64 v[14:15], v[10:11], v[45:46], v[14:15]
	v_fma_f64 v[24:25], v[12:13], v[45:46], v[24:25]
	v_fma_f64 v[12:13], -v[12:13], v[47:48], v[14:15]
	v_fma_f64 v[10:11], v[10:11], v[47:48], v[24:25]
	s_waitcnt vmcnt(0) lgkmcnt(0)
	v_fma_f64 v[12:13], v[20:21], v[49:50], v[12:13]
	v_fma_f64 v[10:11], v[22:23], v[49:50], v[10:11]
	v_fma_f64 v[22:23], -v[22:23], v[51:52], v[12:13]
	v_fma_f64 v[20:21], v[20:21], v[51:52], v[10:11]
	s_cbranch_scc1 .LBB58_14
	s_branch .LBB58_9
.LBB58_15:                              ;   in Loop: Header=BB58_7 Depth=1
	s_or_b64 exec, exec, s[20:21]
.LBB58_16:                              ;   in Loop: Header=BB58_7 Depth=1
	s_or_b64 exec, exec, s[18:19]
	v_cmp_gt_i32_e32 vcc, s22, v18
	s_and_saveexec_b64 s[2:3], vcc
	s_cbranch_execz .LBB58_6
; %bb.17:                               ;   in Loop: Header=BB58_7 Depth=1
	s_and_saveexec_b64 s[18:19], s[4:5]
	s_xor_b64 s[18:19], exec, s[18:19]
	s_cbranch_execz .LBB58_22
; %bb.18:                               ;   in Loop: Header=BB58_7 Depth=1
	s_mov_b64 s[20:21], -1
	s_and_b64 vcc, exec, s[8:9]
	s_cbranch_vccz .LBB58_20
; %bb.19:                               ;   in Loop: Header=BB58_7 Depth=1
	v_lshlrev_b64 v[9:10], 4, v[18:19]
	v_mul_f64 v[15:16], v[20:21], -v[3:4]
	v_add_co_u32_e32 v13, vcc, v33, v9
	v_addc_co_u32_e32 v14, vcc, v34, v10, vcc
	global_load_dwordx4 v[9:12], v[13:14], off
	v_mul_f64 v[24:25], v[1:2], v[20:21]
	s_mov_b64 s[20:21], 0
	v_fma_f64 v[15:16], v[1:2], v[22:23], v[15:16]
	v_fma_f64 v[24:25], v[3:4], v[22:23], v[24:25]
	s_waitcnt vmcnt(0)
	v_fma_f64 v[15:16], v[5:6], v[9:10], v[15:16]
	v_fma_f64 v[24:25], v[7:8], v[9:10], v[24:25]
	v_fma_f64 v[9:10], -v[7:8], v[11:12], v[15:16]
	v_fma_f64 v[11:12], v[5:6], v[11:12], v[24:25]
	global_store_dwordx4 v[13:14], v[9:12], off
.LBB58_20:                              ;   in Loop: Header=BB58_7 Depth=1
	s_andn2_b64 vcc, exec, s[20:21]
	s_cbranch_vccnz .LBB58_22
; %bb.21:                               ;   in Loop: Header=BB58_7 Depth=1
	v_mul_lo_u32 v11, s27, v18
	v_mul_lo_u32 v12, s26, v19
	v_mad_u64_u32 v[9:10], s[20:21], s26, v18, 0
	v_mul_f64 v[15:16], v[20:21], -v[3:4]
	v_mul_f64 v[18:19], v[1:2], v[20:21]
	v_add3_u32 v10, v10, v12, v11
	v_lshlrev_b64 v[9:10], 4, v[9:10]
                                        ; implicit-def: $vgpr20_vgpr21
	v_add_co_u32_e32 v13, vcc, v31, v9
	v_addc_co_u32_e32 v14, vcc, v32, v10, vcc
	global_load_dwordx4 v[9:12], v[13:14], off
	v_fma_f64 v[15:16], v[1:2], v[22:23], v[15:16]
	v_fma_f64 v[18:19], v[3:4], v[22:23], v[18:19]
                                        ; implicit-def: $vgpr22_vgpr23
	s_waitcnt vmcnt(0)
	v_fma_f64 v[15:16], v[5:6], v[9:10], v[15:16]
	v_fma_f64 v[18:19], v[7:8], v[9:10], v[18:19]
	v_fma_f64 v[9:10], -v[7:8], v[11:12], v[15:16]
	v_fma_f64 v[11:12], v[5:6], v[11:12], v[18:19]
                                        ; implicit-def: $vgpr18
	global_store_dwordx4 v[13:14], v[9:12], off
.LBB58_22:                              ;   in Loop: Header=BB58_7 Depth=1
	s_andn2_saveexec_b64 s[18:19], s[18:19]
	s_cbranch_execz .LBB58_6
; %bb.23:                               ;   in Loop: Header=BB58_7 Depth=1
	v_mul_f64 v[9:10], v[20:21], -v[3:4]
	v_mul_f64 v[11:12], v[1:2], v[20:21]
	s_mov_b64 s[18:19], -1
	s_and_b64 vcc, exec, s[8:9]
	v_fma_f64 v[9:10], v[1:2], v[22:23], v[9:10]
	v_fma_f64 v[11:12], v[3:4], v[22:23], v[11:12]
	s_cbranch_vccz .LBB58_25
; %bb.24:                               ;   in Loop: Header=BB58_7 Depth=1
	v_lshlrev_b64 v[13:14], 4, v[18:19]
	s_mov_b64 s[18:19], 0
	v_add_co_u32_e32 v13, vcc, v33, v13
	v_addc_co_u32_e32 v14, vcc, v34, v14, vcc
	global_store_dwordx4 v[13:14], v[9:12], off
.LBB58_25:                              ;   in Loop: Header=BB58_7 Depth=1
	s_andn2_b64 vcc, exec, s[18:19]
	s_cbranch_vccnz .LBB58_6
; %bb.26:                               ;   in Loop: Header=BB58_7 Depth=1
	v_mul_lo_u32 v15, s27, v18
	v_mul_lo_u32 v16, s26, v19
	v_mad_u64_u32 v[13:14], s[18:19], s26, v18, 0
	v_add3_u32 v14, v14, v16, v15
	v_lshlrev_b64 v[13:14], 4, v[13:14]
	v_add_co_u32_e32 v13, vcc, v31, v13
	v_addc_co_u32_e32 v14, vcc, v32, v14, vcc
	global_store_dwordx4 v[13:14], v[9:12], off
	s_branch .LBB58_6
.LBB58_27:
	s_endpgm
	.section	.rodata,"a",@progbits
	.p2align	6, 0x0
	.amdhsa_kernel _ZN9rocsparseL29bsrmmnt_small_blockdim_kernelILj64ELj16ELj2Eii21rocsparse_complex_numIdES2_S2_S2_EEv20rocsparse_direction_T3_S4_llNS_24const_host_device_scalarIT7_EEPKT2_PKS4_PKT4_PKT5_llS7_PT6_ll16rocsparse_order_21rocsparse_index_base_b
		.amdhsa_group_segment_fixed_size 3328
		.amdhsa_private_segment_fixed_size 0
		.amdhsa_kernarg_size 408
		.amdhsa_user_sgpr_count 6
		.amdhsa_user_sgpr_private_segment_buffer 1
		.amdhsa_user_sgpr_dispatch_ptr 0
		.amdhsa_user_sgpr_queue_ptr 0
		.amdhsa_user_sgpr_kernarg_segment_ptr 1
		.amdhsa_user_sgpr_dispatch_id 0
		.amdhsa_user_sgpr_flat_scratch_init 0
		.amdhsa_user_sgpr_private_segment_size 0
		.amdhsa_uses_dynamic_stack 0
		.amdhsa_system_sgpr_private_segment_wavefront_offset 0
		.amdhsa_system_sgpr_workgroup_id_x 1
		.amdhsa_system_sgpr_workgroup_id_y 0
		.amdhsa_system_sgpr_workgroup_id_z 0
		.amdhsa_system_sgpr_workgroup_info 0
		.amdhsa_system_vgpr_workitem_id 0
		.amdhsa_next_free_vgpr 61
		.amdhsa_next_free_sgpr 98
		.amdhsa_reserve_vcc 1
		.amdhsa_reserve_flat_scratch 0
		.amdhsa_float_round_mode_32 0
		.amdhsa_float_round_mode_16_64 0
		.amdhsa_float_denorm_mode_32 3
		.amdhsa_float_denorm_mode_16_64 3
		.amdhsa_dx10_clamp 1
		.amdhsa_ieee_mode 1
		.amdhsa_fp16_overflow 0
		.amdhsa_exception_fp_ieee_invalid_op 0
		.amdhsa_exception_fp_denorm_src 0
		.amdhsa_exception_fp_ieee_div_zero 0
		.amdhsa_exception_fp_ieee_overflow 0
		.amdhsa_exception_fp_ieee_underflow 0
		.amdhsa_exception_fp_ieee_inexact 0
		.amdhsa_exception_int_div_zero 0
	.end_amdhsa_kernel
	.section	.text._ZN9rocsparseL29bsrmmnt_small_blockdim_kernelILj64ELj16ELj2Eii21rocsparse_complex_numIdES2_S2_S2_EEv20rocsparse_direction_T3_S4_llNS_24const_host_device_scalarIT7_EEPKT2_PKS4_PKT4_PKT5_llS7_PT6_ll16rocsparse_order_21rocsparse_index_base_b,"axG",@progbits,_ZN9rocsparseL29bsrmmnt_small_blockdim_kernelILj64ELj16ELj2Eii21rocsparse_complex_numIdES2_S2_S2_EEv20rocsparse_direction_T3_S4_llNS_24const_host_device_scalarIT7_EEPKT2_PKS4_PKT4_PKT5_llS7_PT6_ll16rocsparse_order_21rocsparse_index_base_b,comdat
.Lfunc_end58:
	.size	_ZN9rocsparseL29bsrmmnt_small_blockdim_kernelILj64ELj16ELj2Eii21rocsparse_complex_numIdES2_S2_S2_EEv20rocsparse_direction_T3_S4_llNS_24const_host_device_scalarIT7_EEPKT2_PKS4_PKT4_PKT5_llS7_PT6_ll16rocsparse_order_21rocsparse_index_base_b, .Lfunc_end58-_ZN9rocsparseL29bsrmmnt_small_blockdim_kernelILj64ELj16ELj2Eii21rocsparse_complex_numIdES2_S2_S2_EEv20rocsparse_direction_T3_S4_llNS_24const_host_device_scalarIT7_EEPKT2_PKS4_PKT4_PKT5_llS7_PT6_ll16rocsparse_order_21rocsparse_index_base_b
                                        ; -- End function
	.set _ZN9rocsparseL29bsrmmnt_small_blockdim_kernelILj64ELj16ELj2Eii21rocsparse_complex_numIdES2_S2_S2_EEv20rocsparse_direction_T3_S4_llNS_24const_host_device_scalarIT7_EEPKT2_PKS4_PKT4_PKT5_llS7_PT6_ll16rocsparse_order_21rocsparse_index_base_b.num_vgpr, 61
	.set _ZN9rocsparseL29bsrmmnt_small_blockdim_kernelILj64ELj16ELj2Eii21rocsparse_complex_numIdES2_S2_S2_EEv20rocsparse_direction_T3_S4_llNS_24const_host_device_scalarIT7_EEPKT2_PKS4_PKT4_PKT5_llS7_PT6_ll16rocsparse_order_21rocsparse_index_base_b.num_agpr, 0
	.set _ZN9rocsparseL29bsrmmnt_small_blockdim_kernelILj64ELj16ELj2Eii21rocsparse_complex_numIdES2_S2_S2_EEv20rocsparse_direction_T3_S4_llNS_24const_host_device_scalarIT7_EEPKT2_PKS4_PKT4_PKT5_llS7_PT6_ll16rocsparse_order_21rocsparse_index_base_b.numbered_sgpr, 28
	.set _ZN9rocsparseL29bsrmmnt_small_blockdim_kernelILj64ELj16ELj2Eii21rocsparse_complex_numIdES2_S2_S2_EEv20rocsparse_direction_T3_S4_llNS_24const_host_device_scalarIT7_EEPKT2_PKS4_PKT4_PKT5_llS7_PT6_ll16rocsparse_order_21rocsparse_index_base_b.num_named_barrier, 0
	.set _ZN9rocsparseL29bsrmmnt_small_blockdim_kernelILj64ELj16ELj2Eii21rocsparse_complex_numIdES2_S2_S2_EEv20rocsparse_direction_T3_S4_llNS_24const_host_device_scalarIT7_EEPKT2_PKS4_PKT4_PKT5_llS7_PT6_ll16rocsparse_order_21rocsparse_index_base_b.private_seg_size, 0
	.set _ZN9rocsparseL29bsrmmnt_small_blockdim_kernelILj64ELj16ELj2Eii21rocsparse_complex_numIdES2_S2_S2_EEv20rocsparse_direction_T3_S4_llNS_24const_host_device_scalarIT7_EEPKT2_PKS4_PKT4_PKT5_llS7_PT6_ll16rocsparse_order_21rocsparse_index_base_b.uses_vcc, 1
	.set _ZN9rocsparseL29bsrmmnt_small_blockdim_kernelILj64ELj16ELj2Eii21rocsparse_complex_numIdES2_S2_S2_EEv20rocsparse_direction_T3_S4_llNS_24const_host_device_scalarIT7_EEPKT2_PKS4_PKT4_PKT5_llS7_PT6_ll16rocsparse_order_21rocsparse_index_base_b.uses_flat_scratch, 0
	.set _ZN9rocsparseL29bsrmmnt_small_blockdim_kernelILj64ELj16ELj2Eii21rocsparse_complex_numIdES2_S2_S2_EEv20rocsparse_direction_T3_S4_llNS_24const_host_device_scalarIT7_EEPKT2_PKS4_PKT4_PKT5_llS7_PT6_ll16rocsparse_order_21rocsparse_index_base_b.has_dyn_sized_stack, 0
	.set _ZN9rocsparseL29bsrmmnt_small_blockdim_kernelILj64ELj16ELj2Eii21rocsparse_complex_numIdES2_S2_S2_EEv20rocsparse_direction_T3_S4_llNS_24const_host_device_scalarIT7_EEPKT2_PKS4_PKT4_PKT5_llS7_PT6_ll16rocsparse_order_21rocsparse_index_base_b.has_recursion, 0
	.set _ZN9rocsparseL29bsrmmnt_small_blockdim_kernelILj64ELj16ELj2Eii21rocsparse_complex_numIdES2_S2_S2_EEv20rocsparse_direction_T3_S4_llNS_24const_host_device_scalarIT7_EEPKT2_PKS4_PKT4_PKT5_llS7_PT6_ll16rocsparse_order_21rocsparse_index_base_b.has_indirect_call, 0
	.section	.AMDGPU.csdata,"",@progbits
; Kernel info:
; codeLenInByte = 1812
; TotalNumSgprs: 32
; NumVgprs: 61
; ScratchSize: 0
; MemoryBound: 0
; FloatMode: 240
; IeeeMode: 1
; LDSByteSize: 3328 bytes/workgroup (compile time only)
; SGPRBlocks: 12
; VGPRBlocks: 15
; NumSGPRsForWavesPerEU: 102
; NumVGPRsForWavesPerEU: 61
; Occupancy: 4
; WaveLimiterHint : 0
; COMPUTE_PGM_RSRC2:SCRATCH_EN: 0
; COMPUTE_PGM_RSRC2:USER_SGPR: 6
; COMPUTE_PGM_RSRC2:TRAP_HANDLER: 0
; COMPUTE_PGM_RSRC2:TGID_X_EN: 1
; COMPUTE_PGM_RSRC2:TGID_Y_EN: 0
; COMPUTE_PGM_RSRC2:TGID_Z_EN: 0
; COMPUTE_PGM_RSRC2:TIDIG_COMP_CNT: 0
	.section	.text._ZN9rocsparseL29bsrmmnt_small_blockdim_kernelILj64ELj32ELj2Eii21rocsparse_complex_numIdES2_S2_S2_EEv20rocsparse_direction_T3_S4_llNS_24const_host_device_scalarIT7_EEPKT2_PKS4_PKT4_PKT5_llS7_PT6_ll16rocsparse_order_21rocsparse_index_base_b,"axG",@progbits,_ZN9rocsparseL29bsrmmnt_small_blockdim_kernelILj64ELj32ELj2Eii21rocsparse_complex_numIdES2_S2_S2_EEv20rocsparse_direction_T3_S4_llNS_24const_host_device_scalarIT7_EEPKT2_PKS4_PKT4_PKT5_llS7_PT6_ll16rocsparse_order_21rocsparse_index_base_b,comdat
	.globl	_ZN9rocsparseL29bsrmmnt_small_blockdim_kernelILj64ELj32ELj2Eii21rocsparse_complex_numIdES2_S2_S2_EEv20rocsparse_direction_T3_S4_llNS_24const_host_device_scalarIT7_EEPKT2_PKS4_PKT4_PKT5_llS7_PT6_ll16rocsparse_order_21rocsparse_index_base_b ; -- Begin function _ZN9rocsparseL29bsrmmnt_small_blockdim_kernelILj64ELj32ELj2Eii21rocsparse_complex_numIdES2_S2_S2_EEv20rocsparse_direction_T3_S4_llNS_24const_host_device_scalarIT7_EEPKT2_PKS4_PKT4_PKT5_llS7_PT6_ll16rocsparse_order_21rocsparse_index_base_b
	.p2align	8
	.type	_ZN9rocsparseL29bsrmmnt_small_blockdim_kernelILj64ELj32ELj2Eii21rocsparse_complex_numIdES2_S2_S2_EEv20rocsparse_direction_T3_S4_llNS_24const_host_device_scalarIT7_EEPKT2_PKS4_PKT4_PKT5_llS7_PT6_ll16rocsparse_order_21rocsparse_index_base_b,@function
_ZN9rocsparseL29bsrmmnt_small_blockdim_kernelILj64ELj32ELj2Eii21rocsparse_complex_numIdES2_S2_S2_EEv20rocsparse_direction_T3_S4_llNS_24const_host_device_scalarIT7_EEPKT2_PKS4_PKT4_PKT5_llS7_PT6_ll16rocsparse_order_21rocsparse_index_base_b: ; @_ZN9rocsparseL29bsrmmnt_small_blockdim_kernelILj64ELj32ELj2Eii21rocsparse_complex_numIdES2_S2_S2_EEv20rocsparse_direction_T3_S4_llNS_24const_host_device_scalarIT7_EEPKT2_PKS4_PKT4_PKT5_llS7_PT6_ll16rocsparse_order_21rocsparse_index_base_b
; %bb.0:
	s_load_dwordx2 s[0:1], s[4:5], 0x20
	s_load_dwordx4 s[16:19], s[4:5], 0x88
	s_add_u32 s7, s4, 32
	s_addc_u32 s8, s5, 0
	s_add_u32 s9, s4, 0x60
	s_addc_u32 s10, s5, 0
	s_waitcnt lgkmcnt(0)
	s_bitcmp1_b32 s18, 0
	s_cselect_b32 s1, s8, s1
	s_cselect_b32 s0, s7, s0
	v_mov_b32_e32 v1, s0
	v_mov_b32_e32 v2, s1
	flat_load_dwordx4 v[1:4], v[1:2]
	s_load_dwordx2 s[2:3], s[4:5], 0x60
	s_waitcnt lgkmcnt(0)
	s_cselect_b32 s0, s10, s3
	s_cselect_b32 s1, s9, s2
	v_mov_b32_e32 v5, s1
	v_mov_b32_e32 v6, s0
	flat_load_dwordx4 v[5:8], v[5:6]
	s_waitcnt vmcnt(0)
	v_cmp_eq_f64_e32 vcc, 0, v[1:2]
	v_cmp_eq_f64_e64 s[0:1], 0, v[3:4]
	s_and_b64 s[8:9], vcc, s[0:1]
	s_mov_b64 s[0:1], -1
	s_and_saveexec_b64 s[2:3], s[8:9]
	s_cbranch_execz .LBB59_2
; %bb.1:
	s_waitcnt lgkmcnt(0)
	v_cmp_neq_f64_e32 vcc, 1.0, v[5:6]
	v_cmp_neq_f64_e64 s[0:1], 0, v[7:8]
	s_or_b64 s[0:1], vcc, s[0:1]
	s_orn2_b64 s[0:1], s[0:1], exec
.LBB59_2:
	s_or_b64 exec, exec, s[2:3]
	s_and_saveexec_b64 s[2:3], s[0:1]
	s_cbranch_execz .LBB59_27
; %bb.3:
	s_load_dword s0, s[4:5], 0xa4
	s_load_dwordx4 s[20:23], s[4:5], 0x0
	s_waitcnt lgkmcnt(0)
	s_and_b32 s0, s0, 0xffff
	s_mul_i32 s6, s6, s0
	v_add_u32_e32 v9, s6, v0
	v_lshrrev_b32_e32 v10, 6, v9
	v_cmp_gt_i32_e32 vcc, s21, v10
	s_and_b64 exec, exec, vcc
	s_cbranch_execz .LBB59_27
; %bb.4:
	s_cmp_lt_i32 s22, 1
	s_cbranch_scc1 .LBB59_27
; %bb.5:
	s_load_dwordx8 s[8:15], s[4:5], 0x30
	v_lshlrev_b32_e32 v10, 2, v10
	v_lshrrev_b32_e32 v14, 5, v9
	v_bfe_u32 v9, v9, 5, 1
	v_and_b32_e32 v26, 31, v0
	s_waitcnt lgkmcnt(0)
	global_load_dwordx2 v[10:11], v10, s[8:9]
	s_load_dwordx4 s[24:27], s[4:5], 0x70
	s_load_dwordx2 s[6:7], s[4:5], 0x50
	v_lshrrev_b32_e32 v12, 5, v0
	v_mov_b32_e32 v0, 0xc00
	s_cmp_eq_u32 s20, 0
	v_lshl_or_b32 v0, v12, 7, v0
	v_mul_u32_u24_e32 v27, 0x600, v12
	v_lshlrev_b32_e32 v12, 1, v9
	v_or_b32_e32 v13, 2, v9
	v_or_b32_e32 v18, 1, v12
	s_cselect_b64 s[2:3], -1, 0
	v_cndmask_b32_e64 v29, v9, v12, s[2:3]
	v_cndmask_b32_e64 v30, v13, v18, s[2:3]
	s_waitcnt lgkmcnt(0)
	v_mad_u64_u32 v[12:13], s[2:3], s26, v14, 0
	v_cmp_neq_f64_e32 vcc, 0, v[5:6]
	v_cmp_neq_f64_e64 s[0:1], 0, v[7:8]
	v_lshlrev_b32_e32 v16, 4, v14
	v_mov_b32_e32 v9, s25
	v_add_co_u32_e64 v31, s[2:3], s24, v16
	v_addc_co_u32_e64 v32, s[2:3], 0, v9, s[2:3]
	v_mov_b32_e32 v9, v13
	s_or_b64 s[4:5], vcc, s[0:1]
	v_mul_u32_u24_e32 v15, 48, v26
	v_mov_b32_e32 v18, s25
	s_cmp_lg_u32 s16, 1
	s_mov_b32 s23, 0
	v_mov_b32_e32 v17, 0
	v_lshl_or_b32 v28, v26, 2, v0
	s_cselect_b64 s[8:9], -1, 0
	v_add_u32_e32 v37, v27, v15
	s_waitcnt vmcnt(0)
	v_mad_u64_u32 v[13:14], s[2:3], s27, v14, v[9:10]
	v_subrev_u32_e32 v35, s17, v10
	v_subrev_u32_e32 v36, s17, v11
	v_lshlrev_b64 v[12:13], 4, v[12:13]
	v_cmp_lt_i32_e64 s[0:1], v10, v11
	v_add_co_u32_e32 v33, vcc, s24, v12
	v_addc_co_u32_e32 v34, vcc, v18, v13, vcc
	s_branch .LBB59_7
.LBB59_6:                               ;   in Loop: Header=BB59_7 Depth=1
	s_or_b64 exec, exec, s[2:3]
	s_add_i32 s23, s23, 32
	s_cmp_lt_i32 s23, s22
	s_cbranch_scc0 .LBB59_27
.LBB59_7:                               ; =>This Loop Header: Depth=1
                                        ;     Child Loop BB59_10 Depth 2
                                        ;       Child Loop BB59_14 Depth 3
	v_or_b32_e32 v18, s23, v26
	v_mov_b32_e32 v20, 0
	v_mov_b32_e32 v22, 0
	v_mov_b32_e32 v21, 0
	v_mov_b32_e32 v23, 0
	v_ashrrev_i32_e32 v19, 31, v18
	s_and_saveexec_b64 s[18:19], s[0:1]
	s_cbranch_execz .LBB59_16
; %bb.8:                                ;   in Loop: Header=BB59_7 Depth=1
	v_lshlrev_b64 v[9:10], 4, v[18:19]
	v_mov_b32_e32 v11, s15
	v_add_co_u32_e64 v38, s[2:3], s14, v9
	v_mov_b32_e32 v20, 0
	v_mov_b32_e32 v22, 0
	v_cmp_gt_i32_e32 vcc, s22, v18
	v_addc_co_u32_e64 v39, s[2:3], v11, v10, s[2:3]
	v_mov_b32_e32 v21, 0
	s_mov_b64 s[20:21], 0
	v_mov_b32_e32 v23, 0
	v_mov_b32_e32 v40, v35
	s_branch .LBB59_10
.LBB59_9:                               ;   in Loop: Header=BB59_10 Depth=2
	s_or_b64 exec, exec, s[24:25]
	v_add_u32_e32 v40, 32, v40
	v_cmp_ge_i32_e64 s[2:3], v40, v36
	s_or_b64 s[20:21], s[2:3], s[20:21]
	s_andn2_b64 exec, exec, s[20:21]
	s_cbranch_execz .LBB59_15
.LBB59_10:                              ;   Parent Loop BB59_7 Depth=1
                                        ; =>  This Loop Header: Depth=2
                                        ;       Child Loop BB59_14 Depth 3
	v_add_u32_e32 v24, v40, v26
	v_mov_b32_e32 v13, 0
	v_mov_b32_e32 v15, 0
	;; [unrolled: 1-line block ×4, first 2 shown]
	v_cmp_lt_i32_e64 s[2:3], v24, v36
	v_mov_b32_e32 v14, 0
	v_mov_b32_e32 v16, 0
	;; [unrolled: 1-line block ×5, first 2 shown]
	s_and_saveexec_b64 s[24:25], s[2:3]
	s_cbranch_execz .LBB59_12
; %bb.11:                               ;   in Loop: Header=BB59_10 Depth=2
	v_ashrrev_i32_e32 v25, 31, v24
	v_lshlrev_b64 v[9:10], 2, v[24:25]
	v_mov_b32_e32 v11, s11
	v_add_co_u32_e64 v9, s[2:3], s10, v9
	v_addc_co_u32_e64 v10, s[2:3], v11, v10, s[2:3]
	v_lshlrev_b32_e32 v11, 2, v24
	v_or_b32_e32 v16, v11, v29
	global_load_dword v43, v[9:10], off
	v_lshlrev_b64 v[9:10], 4, v[16:17]
	v_mov_b32_e32 v12, s13
	v_add_co_u32_e64 v24, s[2:3], s12, v9
	v_or_b32_e32 v16, v11, v30
	v_addc_co_u32_e64 v25, s[2:3], v12, v10, s[2:3]
	v_lshlrev_b64 v[9:10], 4, v[16:17]
	v_mov_b32_e32 v11, s13
	v_add_co_u32_e64 v41, s[2:3], s12, v9
	v_addc_co_u32_e64 v42, s[2:3], v11, v10, s[2:3]
	global_load_dwordx4 v[13:16], v[24:25], off
	global_load_dwordx4 v[9:12], v[41:42], off
	s_waitcnt vmcnt(2)
	v_subrev_u32_e32 v24, s17, v43
	v_lshlrev_b32_e32 v25, 1, v24
.LBB59_12:                              ;   in Loop: Header=BB59_10 Depth=2
	s_or_b64 exec, exec, s[24:25]
	ds_write_b32 v28, v25
	s_waitcnt vmcnt(1)
	ds_write_b128 v37, v[13:16]
	s_waitcnt vmcnt(0)
	ds_write_b128 v37, v[9:12] offset:16
	s_waitcnt lgkmcnt(0)
	; wave barrier
	s_and_saveexec_b64 s[24:25], vcc
	s_cbranch_execz .LBB59_9
; %bb.13:                               ;   in Loop: Header=BB59_10 Depth=2
	s_mov_b32 s16, 0
	v_mov_b32_e32 v9, v27
.LBB59_14:                              ;   Parent Loop BB59_7 Depth=1
                                        ;     Parent Loop BB59_10 Depth=2
                                        ; =>    This Inner Loop Header: Depth=3
	v_add_u32_e32 v10, s16, v0
	ds_read_b64 v[13:14], v10
	s_add_i32 s16, s16, 8
	s_cmpk_lg_i32 s16, 0x80
	s_waitcnt lgkmcnt(0)
	v_ashrrev_i32_e32 v12, 31, v13
	v_mul_lo_u32 v15, s7, v13
	v_mad_u64_u32 v[10:11], s[2:3], s6, v13, 0
	v_mul_lo_u32 v12, s6, v12
	v_add_u32_e32 v16, 1, v13
	v_ashrrev_i32_e32 v25, 31, v16
	v_mul_lo_u32 v41, s7, v16
	v_add3_u32 v11, v11, v12, v15
	v_lshlrev_b64 v[10:11], 4, v[10:11]
	v_mul_lo_u32 v25, s6, v25
	v_add_co_u32_e64 v10, s[2:3], v38, v10
	v_addc_co_u32_e64 v11, s[2:3], v39, v11, s[2:3]
	global_load_dwordx4 v[10:13], v[10:11], off
	v_mad_u64_u32 v[15:16], s[2:3], s6, v16, 0
	v_ashrrev_i32_e32 v24, 31, v14
	v_add_u32_e32 v49, 1, v14
	v_add3_u32 v16, v16, v25, v41
	v_lshlrev_b64 v[15:16], 4, v[15:16]
	v_mul_lo_u32 v25, s7, v14
	v_add_co_u32_e64 v15, s[2:3], v38, v15
	v_addc_co_u32_e64 v16, s[2:3], v39, v16, s[2:3]
	global_load_dwordx4 v[41:44], v[15:16], off
	v_mad_u64_u32 v[15:16], s[2:3], s6, v14, 0
	v_mul_lo_u32 v14, s6, v24
	v_mul_lo_u32 v24, s7, v49
	v_add3_u32 v16, v16, v14, v25
	v_lshlrev_b64 v[14:15], 4, v[15:16]
	v_ashrrev_i32_e32 v16, 31, v49
	v_add_co_u32_e64 v14, s[2:3], v38, v14
	v_addc_co_u32_e64 v15, s[2:3], v39, v15, s[2:3]
	global_load_dwordx4 v[45:48], v[14:15], off
	v_mad_u64_u32 v[14:15], s[2:3], s6, v49, 0
	v_mul_lo_u32 v16, s6, v16
	v_add3_u32 v15, v15, v16, v24
	v_lshlrev_b64 v[14:15], 4, v[14:15]
	v_add_co_u32_e64 v14, s[2:3], v38, v14
	v_addc_co_u32_e64 v15, s[2:3], v39, v15, s[2:3]
	global_load_dwordx4 v[49:52], v[14:15], off
	ds_read_b128 v[53:56], v9
	ds_read_b128 v[57:60], v9 offset:16
	s_waitcnt vmcnt(3) lgkmcnt(1)
	v_fma_f64 v[14:15], v[53:54], v[10:11], v[22:23]
	v_fma_f64 v[10:11], v[55:56], v[10:11], v[20:21]
	v_fma_f64 v[14:15], -v[55:56], v[12:13], v[14:15]
	v_fma_f64 v[10:11], v[53:54], v[12:13], v[10:11]
	s_waitcnt vmcnt(2) lgkmcnt(0)
	v_fma_f64 v[12:13], v[57:58], v[41:42], v[14:15]
	v_fma_f64 v[10:11], v[59:60], v[41:42], v[10:11]
	v_fma_f64 v[14:15], -v[59:60], v[43:44], v[12:13]
	v_fma_f64 v[24:25], v[57:58], v[43:44], v[10:11]
	ds_read_b128 v[10:13], v9 offset:48
	ds_read_b128 v[20:23], v9 offset:64
	v_add_u32_e32 v9, 0x60, v9
	s_waitcnt vmcnt(1) lgkmcnt(1)
	v_fma_f64 v[14:15], v[10:11], v[45:46], v[14:15]
	v_fma_f64 v[24:25], v[12:13], v[45:46], v[24:25]
	v_fma_f64 v[12:13], -v[12:13], v[47:48], v[14:15]
	v_fma_f64 v[10:11], v[10:11], v[47:48], v[24:25]
	s_waitcnt vmcnt(0) lgkmcnt(0)
	v_fma_f64 v[12:13], v[20:21], v[49:50], v[12:13]
	v_fma_f64 v[10:11], v[22:23], v[49:50], v[10:11]
	v_fma_f64 v[22:23], -v[22:23], v[51:52], v[12:13]
	v_fma_f64 v[20:21], v[20:21], v[51:52], v[10:11]
	s_cbranch_scc1 .LBB59_14
	s_branch .LBB59_9
.LBB59_15:                              ;   in Loop: Header=BB59_7 Depth=1
	s_or_b64 exec, exec, s[20:21]
.LBB59_16:                              ;   in Loop: Header=BB59_7 Depth=1
	s_or_b64 exec, exec, s[18:19]
	v_cmp_gt_i32_e32 vcc, s22, v18
	s_and_saveexec_b64 s[2:3], vcc
	s_cbranch_execz .LBB59_6
; %bb.17:                               ;   in Loop: Header=BB59_7 Depth=1
	s_and_saveexec_b64 s[18:19], s[4:5]
	s_xor_b64 s[18:19], exec, s[18:19]
	s_cbranch_execz .LBB59_22
; %bb.18:                               ;   in Loop: Header=BB59_7 Depth=1
	s_mov_b64 s[20:21], -1
	s_and_b64 vcc, exec, s[8:9]
	s_cbranch_vccz .LBB59_20
; %bb.19:                               ;   in Loop: Header=BB59_7 Depth=1
	v_lshlrev_b64 v[9:10], 4, v[18:19]
	v_mul_f64 v[15:16], v[20:21], -v[3:4]
	v_add_co_u32_e32 v13, vcc, v33, v9
	v_addc_co_u32_e32 v14, vcc, v34, v10, vcc
	global_load_dwordx4 v[9:12], v[13:14], off
	v_mul_f64 v[24:25], v[1:2], v[20:21]
	s_mov_b64 s[20:21], 0
	v_fma_f64 v[15:16], v[1:2], v[22:23], v[15:16]
	v_fma_f64 v[24:25], v[3:4], v[22:23], v[24:25]
	s_waitcnt vmcnt(0)
	v_fma_f64 v[15:16], v[5:6], v[9:10], v[15:16]
	v_fma_f64 v[24:25], v[7:8], v[9:10], v[24:25]
	v_fma_f64 v[9:10], -v[7:8], v[11:12], v[15:16]
	v_fma_f64 v[11:12], v[5:6], v[11:12], v[24:25]
	global_store_dwordx4 v[13:14], v[9:12], off
.LBB59_20:                              ;   in Loop: Header=BB59_7 Depth=1
	s_andn2_b64 vcc, exec, s[20:21]
	s_cbranch_vccnz .LBB59_22
; %bb.21:                               ;   in Loop: Header=BB59_7 Depth=1
	v_mul_lo_u32 v11, s27, v18
	v_mul_lo_u32 v12, s26, v19
	v_mad_u64_u32 v[9:10], s[20:21], s26, v18, 0
	v_mul_f64 v[15:16], v[20:21], -v[3:4]
	v_mul_f64 v[18:19], v[1:2], v[20:21]
	v_add3_u32 v10, v10, v12, v11
	v_lshlrev_b64 v[9:10], 4, v[9:10]
                                        ; implicit-def: $vgpr20_vgpr21
	v_add_co_u32_e32 v13, vcc, v31, v9
	v_addc_co_u32_e32 v14, vcc, v32, v10, vcc
	global_load_dwordx4 v[9:12], v[13:14], off
	v_fma_f64 v[15:16], v[1:2], v[22:23], v[15:16]
	v_fma_f64 v[18:19], v[3:4], v[22:23], v[18:19]
                                        ; implicit-def: $vgpr22_vgpr23
	s_waitcnt vmcnt(0)
	v_fma_f64 v[15:16], v[5:6], v[9:10], v[15:16]
	v_fma_f64 v[18:19], v[7:8], v[9:10], v[18:19]
	v_fma_f64 v[9:10], -v[7:8], v[11:12], v[15:16]
	v_fma_f64 v[11:12], v[5:6], v[11:12], v[18:19]
                                        ; implicit-def: $vgpr18
	global_store_dwordx4 v[13:14], v[9:12], off
.LBB59_22:                              ;   in Loop: Header=BB59_7 Depth=1
	s_andn2_saveexec_b64 s[18:19], s[18:19]
	s_cbranch_execz .LBB59_6
; %bb.23:                               ;   in Loop: Header=BB59_7 Depth=1
	v_mul_f64 v[9:10], v[20:21], -v[3:4]
	v_mul_f64 v[11:12], v[1:2], v[20:21]
	s_mov_b64 s[18:19], -1
	s_and_b64 vcc, exec, s[8:9]
	v_fma_f64 v[9:10], v[1:2], v[22:23], v[9:10]
	v_fma_f64 v[11:12], v[3:4], v[22:23], v[11:12]
	s_cbranch_vccz .LBB59_25
; %bb.24:                               ;   in Loop: Header=BB59_7 Depth=1
	v_lshlrev_b64 v[13:14], 4, v[18:19]
	s_mov_b64 s[18:19], 0
	v_add_co_u32_e32 v13, vcc, v33, v13
	v_addc_co_u32_e32 v14, vcc, v34, v14, vcc
	global_store_dwordx4 v[13:14], v[9:12], off
.LBB59_25:                              ;   in Loop: Header=BB59_7 Depth=1
	s_andn2_b64 vcc, exec, s[18:19]
	s_cbranch_vccnz .LBB59_6
; %bb.26:                               ;   in Loop: Header=BB59_7 Depth=1
	v_mul_lo_u32 v15, s27, v18
	v_mul_lo_u32 v16, s26, v19
	v_mad_u64_u32 v[13:14], s[18:19], s26, v18, 0
	v_add3_u32 v14, v14, v16, v15
	v_lshlrev_b64 v[13:14], 4, v[13:14]
	v_add_co_u32_e32 v13, vcc, v31, v13
	v_addc_co_u32_e32 v14, vcc, v32, v14, vcc
	global_store_dwordx4 v[13:14], v[9:12], off
	s_branch .LBB59_6
.LBB59_27:
	s_endpgm
	.section	.rodata,"a",@progbits
	.p2align	6, 0x0
	.amdhsa_kernel _ZN9rocsparseL29bsrmmnt_small_blockdim_kernelILj64ELj32ELj2Eii21rocsparse_complex_numIdES2_S2_S2_EEv20rocsparse_direction_T3_S4_llNS_24const_host_device_scalarIT7_EEPKT2_PKS4_PKT4_PKT5_llS7_PT6_ll16rocsparse_order_21rocsparse_index_base_b
		.amdhsa_group_segment_fixed_size 3328
		.amdhsa_private_segment_fixed_size 0
		.amdhsa_kernarg_size 408
		.amdhsa_user_sgpr_count 6
		.amdhsa_user_sgpr_private_segment_buffer 1
		.amdhsa_user_sgpr_dispatch_ptr 0
		.amdhsa_user_sgpr_queue_ptr 0
		.amdhsa_user_sgpr_kernarg_segment_ptr 1
		.amdhsa_user_sgpr_dispatch_id 0
		.amdhsa_user_sgpr_flat_scratch_init 0
		.amdhsa_user_sgpr_private_segment_size 0
		.amdhsa_uses_dynamic_stack 0
		.amdhsa_system_sgpr_private_segment_wavefront_offset 0
		.amdhsa_system_sgpr_workgroup_id_x 1
		.amdhsa_system_sgpr_workgroup_id_y 0
		.amdhsa_system_sgpr_workgroup_id_z 0
		.amdhsa_system_sgpr_workgroup_info 0
		.amdhsa_system_vgpr_workitem_id 0
		.amdhsa_next_free_vgpr 61
		.amdhsa_next_free_sgpr 98
		.amdhsa_reserve_vcc 1
		.amdhsa_reserve_flat_scratch 0
		.amdhsa_float_round_mode_32 0
		.amdhsa_float_round_mode_16_64 0
		.amdhsa_float_denorm_mode_32 3
		.amdhsa_float_denorm_mode_16_64 3
		.amdhsa_dx10_clamp 1
		.amdhsa_ieee_mode 1
		.amdhsa_fp16_overflow 0
		.amdhsa_exception_fp_ieee_invalid_op 0
		.amdhsa_exception_fp_denorm_src 0
		.amdhsa_exception_fp_ieee_div_zero 0
		.amdhsa_exception_fp_ieee_overflow 0
		.amdhsa_exception_fp_ieee_underflow 0
		.amdhsa_exception_fp_ieee_inexact 0
		.amdhsa_exception_int_div_zero 0
	.end_amdhsa_kernel
	.section	.text._ZN9rocsparseL29bsrmmnt_small_blockdim_kernelILj64ELj32ELj2Eii21rocsparse_complex_numIdES2_S2_S2_EEv20rocsparse_direction_T3_S4_llNS_24const_host_device_scalarIT7_EEPKT2_PKS4_PKT4_PKT5_llS7_PT6_ll16rocsparse_order_21rocsparse_index_base_b,"axG",@progbits,_ZN9rocsparseL29bsrmmnt_small_blockdim_kernelILj64ELj32ELj2Eii21rocsparse_complex_numIdES2_S2_S2_EEv20rocsparse_direction_T3_S4_llNS_24const_host_device_scalarIT7_EEPKT2_PKS4_PKT4_PKT5_llS7_PT6_ll16rocsparse_order_21rocsparse_index_base_b,comdat
.Lfunc_end59:
	.size	_ZN9rocsparseL29bsrmmnt_small_blockdim_kernelILj64ELj32ELj2Eii21rocsparse_complex_numIdES2_S2_S2_EEv20rocsparse_direction_T3_S4_llNS_24const_host_device_scalarIT7_EEPKT2_PKS4_PKT4_PKT5_llS7_PT6_ll16rocsparse_order_21rocsparse_index_base_b, .Lfunc_end59-_ZN9rocsparseL29bsrmmnt_small_blockdim_kernelILj64ELj32ELj2Eii21rocsparse_complex_numIdES2_S2_S2_EEv20rocsparse_direction_T3_S4_llNS_24const_host_device_scalarIT7_EEPKT2_PKS4_PKT4_PKT5_llS7_PT6_ll16rocsparse_order_21rocsparse_index_base_b
                                        ; -- End function
	.set _ZN9rocsparseL29bsrmmnt_small_blockdim_kernelILj64ELj32ELj2Eii21rocsparse_complex_numIdES2_S2_S2_EEv20rocsparse_direction_T3_S4_llNS_24const_host_device_scalarIT7_EEPKT2_PKS4_PKT4_PKT5_llS7_PT6_ll16rocsparse_order_21rocsparse_index_base_b.num_vgpr, 61
	.set _ZN9rocsparseL29bsrmmnt_small_blockdim_kernelILj64ELj32ELj2Eii21rocsparse_complex_numIdES2_S2_S2_EEv20rocsparse_direction_T3_S4_llNS_24const_host_device_scalarIT7_EEPKT2_PKS4_PKT4_PKT5_llS7_PT6_ll16rocsparse_order_21rocsparse_index_base_b.num_agpr, 0
	.set _ZN9rocsparseL29bsrmmnt_small_blockdim_kernelILj64ELj32ELj2Eii21rocsparse_complex_numIdES2_S2_S2_EEv20rocsparse_direction_T3_S4_llNS_24const_host_device_scalarIT7_EEPKT2_PKS4_PKT4_PKT5_llS7_PT6_ll16rocsparse_order_21rocsparse_index_base_b.numbered_sgpr, 28
	.set _ZN9rocsparseL29bsrmmnt_small_blockdim_kernelILj64ELj32ELj2Eii21rocsparse_complex_numIdES2_S2_S2_EEv20rocsparse_direction_T3_S4_llNS_24const_host_device_scalarIT7_EEPKT2_PKS4_PKT4_PKT5_llS7_PT6_ll16rocsparse_order_21rocsparse_index_base_b.num_named_barrier, 0
	.set _ZN9rocsparseL29bsrmmnt_small_blockdim_kernelILj64ELj32ELj2Eii21rocsparse_complex_numIdES2_S2_S2_EEv20rocsparse_direction_T3_S4_llNS_24const_host_device_scalarIT7_EEPKT2_PKS4_PKT4_PKT5_llS7_PT6_ll16rocsparse_order_21rocsparse_index_base_b.private_seg_size, 0
	.set _ZN9rocsparseL29bsrmmnt_small_blockdim_kernelILj64ELj32ELj2Eii21rocsparse_complex_numIdES2_S2_S2_EEv20rocsparse_direction_T3_S4_llNS_24const_host_device_scalarIT7_EEPKT2_PKS4_PKT4_PKT5_llS7_PT6_ll16rocsparse_order_21rocsparse_index_base_b.uses_vcc, 1
	.set _ZN9rocsparseL29bsrmmnt_small_blockdim_kernelILj64ELj32ELj2Eii21rocsparse_complex_numIdES2_S2_S2_EEv20rocsparse_direction_T3_S4_llNS_24const_host_device_scalarIT7_EEPKT2_PKS4_PKT4_PKT5_llS7_PT6_ll16rocsparse_order_21rocsparse_index_base_b.uses_flat_scratch, 0
	.set _ZN9rocsparseL29bsrmmnt_small_blockdim_kernelILj64ELj32ELj2Eii21rocsparse_complex_numIdES2_S2_S2_EEv20rocsparse_direction_T3_S4_llNS_24const_host_device_scalarIT7_EEPKT2_PKS4_PKT4_PKT5_llS7_PT6_ll16rocsparse_order_21rocsparse_index_base_b.has_dyn_sized_stack, 0
	.set _ZN9rocsparseL29bsrmmnt_small_blockdim_kernelILj64ELj32ELj2Eii21rocsparse_complex_numIdES2_S2_S2_EEv20rocsparse_direction_T3_S4_llNS_24const_host_device_scalarIT7_EEPKT2_PKS4_PKT4_PKT5_llS7_PT6_ll16rocsparse_order_21rocsparse_index_base_b.has_recursion, 0
	.set _ZN9rocsparseL29bsrmmnt_small_blockdim_kernelILj64ELj32ELj2Eii21rocsparse_complex_numIdES2_S2_S2_EEv20rocsparse_direction_T3_S4_llNS_24const_host_device_scalarIT7_EEPKT2_PKS4_PKT4_PKT5_llS7_PT6_ll16rocsparse_order_21rocsparse_index_base_b.has_indirect_call, 0
	.section	.AMDGPU.csdata,"",@progbits
; Kernel info:
; codeLenInByte = 1812
; TotalNumSgprs: 32
; NumVgprs: 61
; ScratchSize: 0
; MemoryBound: 0
; FloatMode: 240
; IeeeMode: 1
; LDSByteSize: 3328 bytes/workgroup (compile time only)
; SGPRBlocks: 12
; VGPRBlocks: 15
; NumSGPRsForWavesPerEU: 102
; NumVGPRsForWavesPerEU: 61
; Occupancy: 4
; WaveLimiterHint : 0
; COMPUTE_PGM_RSRC2:SCRATCH_EN: 0
; COMPUTE_PGM_RSRC2:USER_SGPR: 6
; COMPUTE_PGM_RSRC2:TRAP_HANDLER: 0
; COMPUTE_PGM_RSRC2:TGID_X_EN: 1
; COMPUTE_PGM_RSRC2:TGID_Y_EN: 0
; COMPUTE_PGM_RSRC2:TGID_Z_EN: 0
; COMPUTE_PGM_RSRC2:TIDIG_COMP_CNT: 0
	.section	.text._ZN9rocsparseL29bsrmmnt_small_blockdim_kernelILj64ELj64ELj2Eii21rocsparse_complex_numIdES2_S2_S2_EEv20rocsparse_direction_T3_S4_llNS_24const_host_device_scalarIT7_EEPKT2_PKS4_PKT4_PKT5_llS7_PT6_ll16rocsparse_order_21rocsparse_index_base_b,"axG",@progbits,_ZN9rocsparseL29bsrmmnt_small_blockdim_kernelILj64ELj64ELj2Eii21rocsparse_complex_numIdES2_S2_S2_EEv20rocsparse_direction_T3_S4_llNS_24const_host_device_scalarIT7_EEPKT2_PKS4_PKT4_PKT5_llS7_PT6_ll16rocsparse_order_21rocsparse_index_base_b,comdat
	.globl	_ZN9rocsparseL29bsrmmnt_small_blockdim_kernelILj64ELj64ELj2Eii21rocsparse_complex_numIdES2_S2_S2_EEv20rocsparse_direction_T3_S4_llNS_24const_host_device_scalarIT7_EEPKT2_PKS4_PKT4_PKT5_llS7_PT6_ll16rocsparse_order_21rocsparse_index_base_b ; -- Begin function _ZN9rocsparseL29bsrmmnt_small_blockdim_kernelILj64ELj64ELj2Eii21rocsparse_complex_numIdES2_S2_S2_EEv20rocsparse_direction_T3_S4_llNS_24const_host_device_scalarIT7_EEPKT2_PKS4_PKT4_PKT5_llS7_PT6_ll16rocsparse_order_21rocsparse_index_base_b
	.p2align	8
	.type	_ZN9rocsparseL29bsrmmnt_small_blockdim_kernelILj64ELj64ELj2Eii21rocsparse_complex_numIdES2_S2_S2_EEv20rocsparse_direction_T3_S4_llNS_24const_host_device_scalarIT7_EEPKT2_PKS4_PKT4_PKT5_llS7_PT6_ll16rocsparse_order_21rocsparse_index_base_b,@function
_ZN9rocsparseL29bsrmmnt_small_blockdim_kernelILj64ELj64ELj2Eii21rocsparse_complex_numIdES2_S2_S2_EEv20rocsparse_direction_T3_S4_llNS_24const_host_device_scalarIT7_EEPKT2_PKS4_PKT4_PKT5_llS7_PT6_ll16rocsparse_order_21rocsparse_index_base_b: ; @_ZN9rocsparseL29bsrmmnt_small_blockdim_kernelILj64ELj64ELj2Eii21rocsparse_complex_numIdES2_S2_S2_EEv20rocsparse_direction_T3_S4_llNS_24const_host_device_scalarIT7_EEPKT2_PKS4_PKT4_PKT5_llS7_PT6_ll16rocsparse_order_21rocsparse_index_base_b
; %bb.0:
	s_load_dwordx2 s[0:1], s[4:5], 0x20
	s_load_dwordx4 s[16:19], s[4:5], 0x88
	s_add_u32 s7, s4, 32
	s_addc_u32 s8, s5, 0
	s_add_u32 s9, s4, 0x60
	s_addc_u32 s10, s5, 0
	s_waitcnt lgkmcnt(0)
	s_bitcmp1_b32 s18, 0
	s_cselect_b32 s1, s8, s1
	s_cselect_b32 s0, s7, s0
	v_mov_b32_e32 v1, s0
	v_mov_b32_e32 v2, s1
	flat_load_dwordx4 v[1:4], v[1:2]
	s_load_dwordx2 s[2:3], s[4:5], 0x60
	s_waitcnt lgkmcnt(0)
	s_cselect_b32 s0, s10, s3
	s_cselect_b32 s1, s9, s2
	v_mov_b32_e32 v5, s1
	v_mov_b32_e32 v6, s0
	flat_load_dwordx4 v[5:8], v[5:6]
	s_waitcnt vmcnt(0)
	v_cmp_eq_f64_e32 vcc, 0, v[1:2]
	v_cmp_eq_f64_e64 s[0:1], 0, v[3:4]
	s_and_b64 s[8:9], vcc, s[0:1]
	s_mov_b64 s[0:1], -1
	s_and_saveexec_b64 s[2:3], s[8:9]
	s_cbranch_execz .LBB60_2
; %bb.1:
	s_waitcnt lgkmcnt(0)
	v_cmp_neq_f64_e32 vcc, 1.0, v[5:6]
	v_cmp_neq_f64_e64 s[0:1], 0, v[7:8]
	s_or_b64 s[0:1], vcc, s[0:1]
	s_orn2_b64 s[0:1], s[0:1], exec
.LBB60_2:
	s_or_b64 exec, exec, s[2:3]
	s_and_saveexec_b64 s[2:3], s[0:1]
	s_cbranch_execz .LBB60_27
; %bb.3:
	s_load_dword s0, s[4:5], 0xa4
	s_load_dwordx4 s[20:23], s[4:5], 0x0
	s_waitcnt lgkmcnt(0)
	s_and_b32 s0, s0, 0xffff
	s_mul_i32 s6, s6, s0
	v_add_u32_e32 v9, s6, v0
	v_lshrrev_b32_e32 v10, 7, v9
	v_cmp_gt_i32_e32 vcc, s21, v10
	s_and_b64 exec, exec, vcc
	s_cbranch_execz .LBB60_27
; %bb.4:
	s_cmp_lt_i32 s22, 1
	s_cbranch_scc1 .LBB60_27
; %bb.5:
	s_load_dwordx8 s[8:15], s[4:5], 0x30
	v_lshlrev_b32_e32 v10, 2, v10
	v_lshrrev_b32_e32 v14, 6, v9
	v_bfe_u32 v9, v9, 6, 1
	s_cmp_eq_u32 s20, 0
	s_waitcnt lgkmcnt(0)
	global_load_dwordx2 v[10:11], v10, s[8:9]
	s_load_dwordx4 s[24:27], s[4:5], 0x70
	s_load_dwordx2 s[6:7], s[4:5], 0x50
	v_lshlrev_b32_e32 v12, 1, v9
	s_cselect_b64 s[2:3], -1, 0
	v_or_b32_e32 v18, 1, v12
	v_cndmask_b32_e64 v29, v9, v12, s[2:3]
	s_waitcnt lgkmcnt(0)
	v_mad_u64_u32 v[12:13], s[4:5], s26, v14, 0
	v_cmp_neq_f64_e32 vcc, 0, v[5:6]
	v_cmp_neq_f64_e64 s[0:1], 0, v[7:8]
	v_lshlrev_b32_e32 v16, 4, v14
	v_or_b32_e32 v15, 2, v9
	v_mov_b32_e32 v9, s25
	v_add_co_u32_e64 v30, s[4:5], s24, v16
	v_addc_co_u32_e64 v31, s[4:5], 0, v9, s[4:5]
	v_mov_b32_e32 v9, v13
	v_mov_b32_e32 v26, 0xc00
	;; [unrolled: 1-line block ×3, first 2 shown]
	s_mov_b32 s23, 0
	v_mul_u32_u24_e32 v27, 48, v0
	v_mov_b32_e32 v17, 0
	v_lshl_or_b32 v28, v0, 2, v26
	v_cndmask_b32_e64 v36, v15, v18, s[2:3]
	s_waitcnt vmcnt(0)
	v_mad_u64_u32 v[13:14], s[4:5], s27, v14, v[9:10]
	s_or_b64 s[4:5], vcc, s[0:1]
	s_cmp_lg_u32 s16, 1
	v_lshlrev_b64 v[12:13], 4, v[12:13]
	s_cselect_b64 s[8:9], -1, 0
	v_add_co_u32_e32 v32, vcc, s24, v12
	v_addc_co_u32_e32 v33, vcc, v19, v13, vcc
	v_subrev_u32_e32 v34, s17, v10
	v_subrev_u32_e32 v35, s17, v11
	v_cmp_lt_i32_e64 s[0:1], v10, v11
	s_branch .LBB60_7
.LBB60_6:                               ;   in Loop: Header=BB60_7 Depth=1
	s_or_b64 exec, exec, s[2:3]
	s_add_i32 s23, s23, 64
	s_cmp_lt_i32 s23, s22
	s_cbranch_scc0 .LBB60_27
.LBB60_7:                               ; =>This Loop Header: Depth=1
                                        ;     Child Loop BB60_10 Depth 2
                                        ;       Child Loop BB60_14 Depth 3
	v_or_b32_e32 v18, s23, v0
	v_mov_b32_e32 v20, 0
	v_mov_b32_e32 v22, 0
	;; [unrolled: 1-line block ×4, first 2 shown]
	v_ashrrev_i32_e32 v19, 31, v18
	s_and_saveexec_b64 s[18:19], s[0:1]
	s_cbranch_execz .LBB60_16
; %bb.8:                                ;   in Loop: Header=BB60_7 Depth=1
	v_lshlrev_b64 v[9:10], 4, v[18:19]
	v_mov_b32_e32 v11, s15
	v_add_co_u32_e64 v37, s[2:3], s14, v9
	v_mov_b32_e32 v20, 0
	v_mov_b32_e32 v22, 0
	v_cmp_gt_i32_e32 vcc, s22, v18
	v_addc_co_u32_e64 v38, s[2:3], v11, v10, s[2:3]
	v_mov_b32_e32 v21, 0
	s_mov_b64 s[20:21], 0
	v_mov_b32_e32 v23, 0
	v_mov_b32_e32 v39, v34
	s_branch .LBB60_10
.LBB60_9:                               ;   in Loop: Header=BB60_10 Depth=2
	s_or_b64 exec, exec, s[24:25]
	v_add_u32_e32 v39, 64, v39
	v_cmp_ge_i32_e64 s[2:3], v39, v35
	s_or_b64 s[20:21], s[2:3], s[20:21]
	s_andn2_b64 exec, exec, s[20:21]
	s_cbranch_execz .LBB60_15
.LBB60_10:                              ;   Parent Loop BB60_7 Depth=1
                                        ; =>  This Loop Header: Depth=2
                                        ;       Child Loop BB60_14 Depth 3
	v_add_u32_e32 v24, v39, v0
	v_mov_b32_e32 v13, 0
	v_mov_b32_e32 v15, 0
	;; [unrolled: 1-line block ×4, first 2 shown]
	v_cmp_lt_i32_e64 s[2:3], v24, v35
	v_mov_b32_e32 v14, 0
	v_mov_b32_e32 v16, 0
	v_mov_b32_e32 v10, 0
	v_mov_b32_e32 v12, 0
	v_mov_b32_e32 v25, 0
	s_and_saveexec_b64 s[24:25], s[2:3]
	s_cbranch_execz .LBB60_12
; %bb.11:                               ;   in Loop: Header=BB60_10 Depth=2
	v_ashrrev_i32_e32 v25, 31, v24
	v_lshlrev_b64 v[9:10], 2, v[24:25]
	v_mov_b32_e32 v11, s11
	v_add_co_u32_e64 v9, s[2:3], s10, v9
	v_addc_co_u32_e64 v10, s[2:3], v11, v10, s[2:3]
	v_lshlrev_b32_e32 v11, 2, v24
	v_or_b32_e32 v16, v11, v29
	global_load_dword v42, v[9:10], off
	v_lshlrev_b64 v[9:10], 4, v[16:17]
	v_mov_b32_e32 v12, s13
	v_add_co_u32_e64 v24, s[2:3], s12, v9
	v_or_b32_e32 v16, v11, v36
	v_addc_co_u32_e64 v25, s[2:3], v12, v10, s[2:3]
	v_lshlrev_b64 v[9:10], 4, v[16:17]
	v_mov_b32_e32 v11, s13
	v_add_co_u32_e64 v40, s[2:3], s12, v9
	v_addc_co_u32_e64 v41, s[2:3], v11, v10, s[2:3]
	global_load_dwordx4 v[13:16], v[24:25], off
	global_load_dwordx4 v[9:12], v[40:41], off
	s_waitcnt vmcnt(2)
	v_subrev_u32_e32 v24, s17, v42
	v_lshlrev_b32_e32 v25, 1, v24
.LBB60_12:                              ;   in Loop: Header=BB60_10 Depth=2
	s_or_b64 exec, exec, s[24:25]
	ds_write_b32 v28, v25
	s_waitcnt vmcnt(1)
	ds_write_b128 v27, v[13:16]
	s_waitcnt vmcnt(0)
	ds_write_b128 v27, v[9:12] offset:16
	s_waitcnt lgkmcnt(0)
	; wave barrier
	s_and_saveexec_b64 s[24:25], vcc
	s_cbranch_execz .LBB60_9
; %bb.13:                               ;   in Loop: Header=BB60_10 Depth=2
	s_mov_b32 s16, 0
	v_mov_b32_e32 v9, 0
.LBB60_14:                              ;   Parent Loop BB60_7 Depth=1
                                        ;     Parent Loop BB60_10 Depth=2
                                        ; =>    This Inner Loop Header: Depth=3
	v_add_u32_e32 v10, s16, v26
	ds_read_b64 v[13:14], v10
	s_add_i32 s16, s16, 8
	s_cmpk_lg_i32 s16, 0x100
	s_waitcnt lgkmcnt(0)
	v_ashrrev_i32_e32 v12, 31, v13
	v_mul_lo_u32 v15, s7, v13
	v_mad_u64_u32 v[10:11], s[2:3], s6, v13, 0
	v_mul_lo_u32 v12, s6, v12
	v_add_u32_e32 v16, 1, v13
	v_ashrrev_i32_e32 v25, 31, v16
	v_mul_lo_u32 v40, s7, v16
	v_add3_u32 v11, v11, v12, v15
	v_lshlrev_b64 v[10:11], 4, v[10:11]
	v_mul_lo_u32 v25, s6, v25
	v_add_co_u32_e64 v10, s[2:3], v37, v10
	v_addc_co_u32_e64 v11, s[2:3], v38, v11, s[2:3]
	global_load_dwordx4 v[10:13], v[10:11], off
	v_mad_u64_u32 v[15:16], s[2:3], s6, v16, 0
	v_ashrrev_i32_e32 v24, 31, v14
	v_add_u32_e32 v48, 1, v14
	v_add3_u32 v16, v16, v25, v40
	v_lshlrev_b64 v[15:16], 4, v[15:16]
	v_mul_lo_u32 v25, s7, v14
	v_add_co_u32_e64 v15, s[2:3], v37, v15
	v_addc_co_u32_e64 v16, s[2:3], v38, v16, s[2:3]
	global_load_dwordx4 v[40:43], v[15:16], off
	v_mad_u64_u32 v[15:16], s[2:3], s6, v14, 0
	v_mul_lo_u32 v14, s6, v24
	v_mul_lo_u32 v24, s7, v48
	v_add3_u32 v16, v16, v14, v25
	v_lshlrev_b64 v[14:15], 4, v[15:16]
	v_ashrrev_i32_e32 v16, 31, v48
	v_add_co_u32_e64 v14, s[2:3], v37, v14
	v_addc_co_u32_e64 v15, s[2:3], v38, v15, s[2:3]
	global_load_dwordx4 v[44:47], v[14:15], off
	v_mad_u64_u32 v[14:15], s[2:3], s6, v48, 0
	v_mul_lo_u32 v16, s6, v16
	v_add3_u32 v15, v15, v16, v24
	v_lshlrev_b64 v[14:15], 4, v[14:15]
	v_add_co_u32_e64 v14, s[2:3], v37, v14
	v_addc_co_u32_e64 v15, s[2:3], v38, v15, s[2:3]
	global_load_dwordx4 v[48:51], v[14:15], off
	ds_read_b128 v[52:55], v9
	ds_read_b128 v[56:59], v9 offset:16
	s_waitcnt vmcnt(3) lgkmcnt(1)
	v_fma_f64 v[14:15], v[52:53], v[10:11], v[22:23]
	v_fma_f64 v[10:11], v[54:55], v[10:11], v[20:21]
	v_fma_f64 v[14:15], -v[54:55], v[12:13], v[14:15]
	v_fma_f64 v[10:11], v[52:53], v[12:13], v[10:11]
	s_waitcnt vmcnt(2) lgkmcnt(0)
	v_fma_f64 v[12:13], v[56:57], v[40:41], v[14:15]
	v_fma_f64 v[10:11], v[58:59], v[40:41], v[10:11]
	v_fma_f64 v[14:15], -v[58:59], v[42:43], v[12:13]
	v_fma_f64 v[24:25], v[56:57], v[42:43], v[10:11]
	ds_read_b128 v[10:13], v9 offset:48
	ds_read_b128 v[20:23], v9 offset:64
	v_add_u32_e32 v9, 0x60, v9
	s_waitcnt vmcnt(1) lgkmcnt(1)
	v_fma_f64 v[14:15], v[10:11], v[44:45], v[14:15]
	v_fma_f64 v[24:25], v[12:13], v[44:45], v[24:25]
	v_fma_f64 v[12:13], -v[12:13], v[46:47], v[14:15]
	v_fma_f64 v[10:11], v[10:11], v[46:47], v[24:25]
	s_waitcnt vmcnt(0) lgkmcnt(0)
	v_fma_f64 v[12:13], v[20:21], v[48:49], v[12:13]
	v_fma_f64 v[10:11], v[22:23], v[48:49], v[10:11]
	v_fma_f64 v[22:23], -v[22:23], v[50:51], v[12:13]
	v_fma_f64 v[20:21], v[20:21], v[50:51], v[10:11]
	s_cbranch_scc1 .LBB60_14
	s_branch .LBB60_9
.LBB60_15:                              ;   in Loop: Header=BB60_7 Depth=1
	s_or_b64 exec, exec, s[20:21]
.LBB60_16:                              ;   in Loop: Header=BB60_7 Depth=1
	s_or_b64 exec, exec, s[18:19]
	v_cmp_gt_i32_e32 vcc, s22, v18
	s_and_saveexec_b64 s[2:3], vcc
	s_cbranch_execz .LBB60_6
; %bb.17:                               ;   in Loop: Header=BB60_7 Depth=1
	s_and_saveexec_b64 s[18:19], s[4:5]
	s_xor_b64 s[18:19], exec, s[18:19]
	s_cbranch_execz .LBB60_22
; %bb.18:                               ;   in Loop: Header=BB60_7 Depth=1
	s_mov_b64 s[20:21], -1
	s_and_b64 vcc, exec, s[8:9]
	s_cbranch_vccz .LBB60_20
; %bb.19:                               ;   in Loop: Header=BB60_7 Depth=1
	v_lshlrev_b64 v[9:10], 4, v[18:19]
	v_mul_f64 v[15:16], v[20:21], -v[3:4]
	v_add_co_u32_e32 v13, vcc, v32, v9
	v_addc_co_u32_e32 v14, vcc, v33, v10, vcc
	global_load_dwordx4 v[9:12], v[13:14], off
	v_mul_f64 v[24:25], v[1:2], v[20:21]
	s_mov_b64 s[20:21], 0
	v_fma_f64 v[15:16], v[1:2], v[22:23], v[15:16]
	v_fma_f64 v[24:25], v[3:4], v[22:23], v[24:25]
	s_waitcnt vmcnt(0)
	v_fma_f64 v[15:16], v[5:6], v[9:10], v[15:16]
	v_fma_f64 v[24:25], v[7:8], v[9:10], v[24:25]
	v_fma_f64 v[9:10], -v[7:8], v[11:12], v[15:16]
	v_fma_f64 v[11:12], v[5:6], v[11:12], v[24:25]
	global_store_dwordx4 v[13:14], v[9:12], off
.LBB60_20:                              ;   in Loop: Header=BB60_7 Depth=1
	s_andn2_b64 vcc, exec, s[20:21]
	s_cbranch_vccnz .LBB60_22
; %bb.21:                               ;   in Loop: Header=BB60_7 Depth=1
	v_mul_lo_u32 v11, s27, v18
	v_mul_lo_u32 v12, s26, v19
	v_mad_u64_u32 v[9:10], s[20:21], s26, v18, 0
	v_mul_f64 v[15:16], v[20:21], -v[3:4]
	v_mul_f64 v[18:19], v[1:2], v[20:21]
	v_add3_u32 v10, v10, v12, v11
	v_lshlrev_b64 v[9:10], 4, v[9:10]
                                        ; implicit-def: $vgpr20_vgpr21
	v_add_co_u32_e32 v13, vcc, v30, v9
	v_addc_co_u32_e32 v14, vcc, v31, v10, vcc
	global_load_dwordx4 v[9:12], v[13:14], off
	v_fma_f64 v[15:16], v[1:2], v[22:23], v[15:16]
	v_fma_f64 v[18:19], v[3:4], v[22:23], v[18:19]
                                        ; implicit-def: $vgpr22_vgpr23
	s_waitcnt vmcnt(0)
	v_fma_f64 v[15:16], v[5:6], v[9:10], v[15:16]
	v_fma_f64 v[18:19], v[7:8], v[9:10], v[18:19]
	v_fma_f64 v[9:10], -v[7:8], v[11:12], v[15:16]
	v_fma_f64 v[11:12], v[5:6], v[11:12], v[18:19]
                                        ; implicit-def: $vgpr18
	global_store_dwordx4 v[13:14], v[9:12], off
.LBB60_22:                              ;   in Loop: Header=BB60_7 Depth=1
	s_andn2_saveexec_b64 s[18:19], s[18:19]
	s_cbranch_execz .LBB60_6
; %bb.23:                               ;   in Loop: Header=BB60_7 Depth=1
	v_mul_f64 v[9:10], v[20:21], -v[3:4]
	v_mul_f64 v[11:12], v[1:2], v[20:21]
	s_mov_b64 s[18:19], -1
	s_and_b64 vcc, exec, s[8:9]
	v_fma_f64 v[9:10], v[1:2], v[22:23], v[9:10]
	v_fma_f64 v[11:12], v[3:4], v[22:23], v[11:12]
	s_cbranch_vccz .LBB60_25
; %bb.24:                               ;   in Loop: Header=BB60_7 Depth=1
	v_lshlrev_b64 v[13:14], 4, v[18:19]
	s_mov_b64 s[18:19], 0
	v_add_co_u32_e32 v13, vcc, v32, v13
	v_addc_co_u32_e32 v14, vcc, v33, v14, vcc
	global_store_dwordx4 v[13:14], v[9:12], off
.LBB60_25:                              ;   in Loop: Header=BB60_7 Depth=1
	s_andn2_b64 vcc, exec, s[18:19]
	s_cbranch_vccnz .LBB60_6
; %bb.26:                               ;   in Loop: Header=BB60_7 Depth=1
	v_mul_lo_u32 v15, s27, v18
	v_mul_lo_u32 v16, s26, v19
	v_mad_u64_u32 v[13:14], s[18:19], s26, v18, 0
	v_add3_u32 v14, v14, v16, v15
	v_lshlrev_b64 v[13:14], 4, v[13:14]
	v_add_co_u32_e32 v13, vcc, v30, v13
	v_addc_co_u32_e32 v14, vcc, v31, v14, vcc
	global_store_dwordx4 v[13:14], v[9:12], off
	s_branch .LBB60_6
.LBB60_27:
	s_endpgm
	.section	.rodata,"a",@progbits
	.p2align	6, 0x0
	.amdhsa_kernel _ZN9rocsparseL29bsrmmnt_small_blockdim_kernelILj64ELj64ELj2Eii21rocsparse_complex_numIdES2_S2_S2_EEv20rocsparse_direction_T3_S4_llNS_24const_host_device_scalarIT7_EEPKT2_PKS4_PKT4_PKT5_llS7_PT6_ll16rocsparse_order_21rocsparse_index_base_b
		.amdhsa_group_segment_fixed_size 3328
		.amdhsa_private_segment_fixed_size 0
		.amdhsa_kernarg_size 408
		.amdhsa_user_sgpr_count 6
		.amdhsa_user_sgpr_private_segment_buffer 1
		.amdhsa_user_sgpr_dispatch_ptr 0
		.amdhsa_user_sgpr_queue_ptr 0
		.amdhsa_user_sgpr_kernarg_segment_ptr 1
		.amdhsa_user_sgpr_dispatch_id 0
		.amdhsa_user_sgpr_flat_scratch_init 0
		.amdhsa_user_sgpr_private_segment_size 0
		.amdhsa_uses_dynamic_stack 0
		.amdhsa_system_sgpr_private_segment_wavefront_offset 0
		.amdhsa_system_sgpr_workgroup_id_x 1
		.amdhsa_system_sgpr_workgroup_id_y 0
		.amdhsa_system_sgpr_workgroup_id_z 0
		.amdhsa_system_sgpr_workgroup_info 0
		.amdhsa_system_vgpr_workitem_id 0
		.amdhsa_next_free_vgpr 60
		.amdhsa_next_free_sgpr 98
		.amdhsa_reserve_vcc 1
		.amdhsa_reserve_flat_scratch 0
		.amdhsa_float_round_mode_32 0
		.amdhsa_float_round_mode_16_64 0
		.amdhsa_float_denorm_mode_32 3
		.amdhsa_float_denorm_mode_16_64 3
		.amdhsa_dx10_clamp 1
		.amdhsa_ieee_mode 1
		.amdhsa_fp16_overflow 0
		.amdhsa_exception_fp_ieee_invalid_op 0
		.amdhsa_exception_fp_denorm_src 0
		.amdhsa_exception_fp_ieee_div_zero 0
		.amdhsa_exception_fp_ieee_overflow 0
		.amdhsa_exception_fp_ieee_underflow 0
		.amdhsa_exception_fp_ieee_inexact 0
		.amdhsa_exception_int_div_zero 0
	.end_amdhsa_kernel
	.section	.text._ZN9rocsparseL29bsrmmnt_small_blockdim_kernelILj64ELj64ELj2Eii21rocsparse_complex_numIdES2_S2_S2_EEv20rocsparse_direction_T3_S4_llNS_24const_host_device_scalarIT7_EEPKT2_PKS4_PKT4_PKT5_llS7_PT6_ll16rocsparse_order_21rocsparse_index_base_b,"axG",@progbits,_ZN9rocsparseL29bsrmmnt_small_blockdim_kernelILj64ELj64ELj2Eii21rocsparse_complex_numIdES2_S2_S2_EEv20rocsparse_direction_T3_S4_llNS_24const_host_device_scalarIT7_EEPKT2_PKS4_PKT4_PKT5_llS7_PT6_ll16rocsparse_order_21rocsparse_index_base_b,comdat
.Lfunc_end60:
	.size	_ZN9rocsparseL29bsrmmnt_small_blockdim_kernelILj64ELj64ELj2Eii21rocsparse_complex_numIdES2_S2_S2_EEv20rocsparse_direction_T3_S4_llNS_24const_host_device_scalarIT7_EEPKT2_PKS4_PKT4_PKT5_llS7_PT6_ll16rocsparse_order_21rocsparse_index_base_b, .Lfunc_end60-_ZN9rocsparseL29bsrmmnt_small_blockdim_kernelILj64ELj64ELj2Eii21rocsparse_complex_numIdES2_S2_S2_EEv20rocsparse_direction_T3_S4_llNS_24const_host_device_scalarIT7_EEPKT2_PKS4_PKT4_PKT5_llS7_PT6_ll16rocsparse_order_21rocsparse_index_base_b
                                        ; -- End function
	.set _ZN9rocsparseL29bsrmmnt_small_blockdim_kernelILj64ELj64ELj2Eii21rocsparse_complex_numIdES2_S2_S2_EEv20rocsparse_direction_T3_S4_llNS_24const_host_device_scalarIT7_EEPKT2_PKS4_PKT4_PKT5_llS7_PT6_ll16rocsparse_order_21rocsparse_index_base_b.num_vgpr, 60
	.set _ZN9rocsparseL29bsrmmnt_small_blockdim_kernelILj64ELj64ELj2Eii21rocsparse_complex_numIdES2_S2_S2_EEv20rocsparse_direction_T3_S4_llNS_24const_host_device_scalarIT7_EEPKT2_PKS4_PKT4_PKT5_llS7_PT6_ll16rocsparse_order_21rocsparse_index_base_b.num_agpr, 0
	.set _ZN9rocsparseL29bsrmmnt_small_blockdim_kernelILj64ELj64ELj2Eii21rocsparse_complex_numIdES2_S2_S2_EEv20rocsparse_direction_T3_S4_llNS_24const_host_device_scalarIT7_EEPKT2_PKS4_PKT4_PKT5_llS7_PT6_ll16rocsparse_order_21rocsparse_index_base_b.numbered_sgpr, 28
	.set _ZN9rocsparseL29bsrmmnt_small_blockdim_kernelILj64ELj64ELj2Eii21rocsparse_complex_numIdES2_S2_S2_EEv20rocsparse_direction_T3_S4_llNS_24const_host_device_scalarIT7_EEPKT2_PKS4_PKT4_PKT5_llS7_PT6_ll16rocsparse_order_21rocsparse_index_base_b.num_named_barrier, 0
	.set _ZN9rocsparseL29bsrmmnt_small_blockdim_kernelILj64ELj64ELj2Eii21rocsparse_complex_numIdES2_S2_S2_EEv20rocsparse_direction_T3_S4_llNS_24const_host_device_scalarIT7_EEPKT2_PKS4_PKT4_PKT5_llS7_PT6_ll16rocsparse_order_21rocsparse_index_base_b.private_seg_size, 0
	.set _ZN9rocsparseL29bsrmmnt_small_blockdim_kernelILj64ELj64ELj2Eii21rocsparse_complex_numIdES2_S2_S2_EEv20rocsparse_direction_T3_S4_llNS_24const_host_device_scalarIT7_EEPKT2_PKS4_PKT4_PKT5_llS7_PT6_ll16rocsparse_order_21rocsparse_index_base_b.uses_vcc, 1
	.set _ZN9rocsparseL29bsrmmnt_small_blockdim_kernelILj64ELj64ELj2Eii21rocsparse_complex_numIdES2_S2_S2_EEv20rocsparse_direction_T3_S4_llNS_24const_host_device_scalarIT7_EEPKT2_PKS4_PKT4_PKT5_llS7_PT6_ll16rocsparse_order_21rocsparse_index_base_b.uses_flat_scratch, 0
	.set _ZN9rocsparseL29bsrmmnt_small_blockdim_kernelILj64ELj64ELj2Eii21rocsparse_complex_numIdES2_S2_S2_EEv20rocsparse_direction_T3_S4_llNS_24const_host_device_scalarIT7_EEPKT2_PKS4_PKT4_PKT5_llS7_PT6_ll16rocsparse_order_21rocsparse_index_base_b.has_dyn_sized_stack, 0
	.set _ZN9rocsparseL29bsrmmnt_small_blockdim_kernelILj64ELj64ELj2Eii21rocsparse_complex_numIdES2_S2_S2_EEv20rocsparse_direction_T3_S4_llNS_24const_host_device_scalarIT7_EEPKT2_PKS4_PKT4_PKT5_llS7_PT6_ll16rocsparse_order_21rocsparse_index_base_b.has_recursion, 0
	.set _ZN9rocsparseL29bsrmmnt_small_blockdim_kernelILj64ELj64ELj2Eii21rocsparse_complex_numIdES2_S2_S2_EEv20rocsparse_direction_T3_S4_llNS_24const_host_device_scalarIT7_EEPKT2_PKS4_PKT4_PKT5_llS7_PT6_ll16rocsparse_order_21rocsparse_index_base_b.has_indirect_call, 0
	.section	.AMDGPU.csdata,"",@progbits
; Kernel info:
; codeLenInByte = 1784
; TotalNumSgprs: 32
; NumVgprs: 60
; ScratchSize: 0
; MemoryBound: 0
; FloatMode: 240
; IeeeMode: 1
; LDSByteSize: 3328 bytes/workgroup (compile time only)
; SGPRBlocks: 12
; VGPRBlocks: 14
; NumSGPRsForWavesPerEU: 102
; NumVGPRsForWavesPerEU: 60
; Occupancy: 4
; WaveLimiterHint : 0
; COMPUTE_PGM_RSRC2:SCRATCH_EN: 0
; COMPUTE_PGM_RSRC2:USER_SGPR: 6
; COMPUTE_PGM_RSRC2:TRAP_HANDLER: 0
; COMPUTE_PGM_RSRC2:TGID_X_EN: 1
; COMPUTE_PGM_RSRC2:TGID_Y_EN: 0
; COMPUTE_PGM_RSRC2:TGID_Z_EN: 0
; COMPUTE_PGM_RSRC2:TIDIG_COMP_CNT: 0
	.section	.text._ZN9rocsparseL29bsrmmnt_small_blockdim_kernelILj64ELj8ELj2Eli21rocsparse_complex_numIdES2_S2_S2_EEv20rocsparse_direction_T3_S4_llNS_24const_host_device_scalarIT7_EEPKT2_PKS4_PKT4_PKT5_llS7_PT6_ll16rocsparse_order_21rocsparse_index_base_b,"axG",@progbits,_ZN9rocsparseL29bsrmmnt_small_blockdim_kernelILj64ELj8ELj2Eli21rocsparse_complex_numIdES2_S2_S2_EEv20rocsparse_direction_T3_S4_llNS_24const_host_device_scalarIT7_EEPKT2_PKS4_PKT4_PKT5_llS7_PT6_ll16rocsparse_order_21rocsparse_index_base_b,comdat
	.globl	_ZN9rocsparseL29bsrmmnt_small_blockdim_kernelILj64ELj8ELj2Eli21rocsparse_complex_numIdES2_S2_S2_EEv20rocsparse_direction_T3_S4_llNS_24const_host_device_scalarIT7_EEPKT2_PKS4_PKT4_PKT5_llS7_PT6_ll16rocsparse_order_21rocsparse_index_base_b ; -- Begin function _ZN9rocsparseL29bsrmmnt_small_blockdim_kernelILj64ELj8ELj2Eli21rocsparse_complex_numIdES2_S2_S2_EEv20rocsparse_direction_T3_S4_llNS_24const_host_device_scalarIT7_EEPKT2_PKS4_PKT4_PKT5_llS7_PT6_ll16rocsparse_order_21rocsparse_index_base_b
	.p2align	8
	.type	_ZN9rocsparseL29bsrmmnt_small_blockdim_kernelILj64ELj8ELj2Eli21rocsparse_complex_numIdES2_S2_S2_EEv20rocsparse_direction_T3_S4_llNS_24const_host_device_scalarIT7_EEPKT2_PKS4_PKT4_PKT5_llS7_PT6_ll16rocsparse_order_21rocsparse_index_base_b,@function
_ZN9rocsparseL29bsrmmnt_small_blockdim_kernelILj64ELj8ELj2Eli21rocsparse_complex_numIdES2_S2_S2_EEv20rocsparse_direction_T3_S4_llNS_24const_host_device_scalarIT7_EEPKT2_PKS4_PKT4_PKT5_llS7_PT6_ll16rocsparse_order_21rocsparse_index_base_b: ; @_ZN9rocsparseL29bsrmmnt_small_blockdim_kernelILj64ELj8ELj2Eli21rocsparse_complex_numIdES2_S2_S2_EEv20rocsparse_direction_T3_S4_llNS_24const_host_device_scalarIT7_EEPKT2_PKS4_PKT4_PKT5_llS7_PT6_ll16rocsparse_order_21rocsparse_index_base_b
; %bb.0:
	s_load_dwordx2 s[0:1], s[4:5], 0x20
	s_load_dwordx4 s[16:19], s[4:5], 0x88
	s_add_u32 s7, s4, 32
	s_addc_u32 s8, s5, 0
	s_add_u32 s9, s4, 0x60
	s_addc_u32 s10, s5, 0
	s_waitcnt lgkmcnt(0)
	s_bitcmp1_b32 s18, 0
	s_cselect_b32 s1, s8, s1
	s_cselect_b32 s0, s7, s0
	v_mov_b32_e32 v1, s0
	v_mov_b32_e32 v2, s1
	flat_load_dwordx4 v[1:4], v[1:2]
	s_load_dwordx2 s[2:3], s[4:5], 0x60
	s_waitcnt lgkmcnt(0)
	s_cselect_b32 s0, s10, s3
	s_cselect_b32 s1, s9, s2
	v_mov_b32_e32 v5, s1
	v_mov_b32_e32 v6, s0
	flat_load_dwordx4 v[5:8], v[5:6]
	s_waitcnt vmcnt(0)
	v_cmp_eq_f64_e32 vcc, 0, v[1:2]
	v_cmp_eq_f64_e64 s[0:1], 0, v[3:4]
	s_and_b64 s[8:9], vcc, s[0:1]
	s_mov_b64 s[0:1], -1
	s_and_saveexec_b64 s[2:3], s[8:9]
	s_cbranch_execz .LBB61_2
; %bb.1:
	s_waitcnt lgkmcnt(0)
	v_cmp_neq_f64_e32 vcc, 1.0, v[5:6]
	v_cmp_neq_f64_e64 s[0:1], 0, v[7:8]
	s_or_b64 s[0:1], vcc, s[0:1]
	s_orn2_b64 s[0:1], s[0:1], exec
.LBB61_2:
	s_or_b64 exec, exec, s[2:3]
	s_and_saveexec_b64 s[2:3], s[0:1]
	s_cbranch_execz .LBB61_27
; %bb.3:
	s_load_dword s0, s[4:5], 0xa4
	s_load_dwordx4 s[20:23], s[4:5], 0x0
	s_waitcnt lgkmcnt(0)
	s_and_b32 s0, s0, 0xffff
	s_mul_i32 s6, s6, s0
	v_add_u32_e32 v9, s6, v0
	v_lshrrev_b32_e32 v10, 4, v9
	v_cmp_gt_i32_e32 vcc, s21, v10
	s_and_b64 exec, exec, vcc
	s_cbranch_execz .LBB61_27
; %bb.4:
	s_cmp_lt_i32 s22, 1
	s_cbranch_scc1 .LBB61_27
; %bb.5:
	s_load_dwordx8 s[8:15], s[4:5], 0x30
	v_lshlrev_b32_e32 v10, 3, v10
	v_cmp_neq_f64_e32 vcc, 0, v[5:6]
	v_cmp_neq_f64_e64 s[0:1], 0, v[7:8]
	v_lshrrev_b32_e32 v14, 3, v9
	s_waitcnt lgkmcnt(0)
	global_load_dwordx4 v[10:13], v10, s[8:9]
	s_load_dwordx4 s[24:27], s[4:5], 0x70
	s_load_dwordx2 s[6:7], s[4:5], 0x50
	v_mov_b32_e32 v15, 0
	v_lshlrev_b64 v[15:16], 4, v[14:15]
	v_bfe_u32 v19, v9, 3, 1
	s_waitcnt lgkmcnt(0)
	v_mad_u64_u32 v[17:18], s[2:3], s26, v14, 0
	v_and_b32_e32 v31, 7, v0
	v_lshrrev_b32_e32 v9, 3, v0
	v_mov_b32_e32 v0, 0xc00
	v_lshl_or_b32 v0, v9, 5, v0
	v_mul_u32_u24_e32 v32, 0x180, v9
	v_mov_b32_e32 v9, s25
	v_add_co_u32_e64 v34, s[2:3], s24, v15
	s_or_b64 s[4:5], vcc, s[0:1]
	v_addc_co_u32_e64 v35, s[2:3], v9, v16, s[2:3]
	s_cmp_lg_u32 s16, 1
	v_mov_b32_e32 v9, v18
	s_cselect_b64 s[8:9], -1, 0
	s_cmp_eq_u32 s20, 0
	v_mov_b32_e32 v22, s13
	v_mov_b32_e32 v20, s25
	v_mul_u32_u24_e32 v21, 48, v31
	s_mov_b32 s23, 0
	v_lshl_or_b32 v33, v31, 2, v0
	v_add_u32_e32 v40, v32, v21
	s_waitcnt vmcnt(0)
	v_mad_u64_u32 v[14:15], s[0:1], s27, v14, v[9:10]
	s_cselect_b64 s[0:1], -1, 0
	v_cndmask_b32_e64 v9, 0, 1, s[0:1]
	v_lshlrev_b32_e32 v9, v9, v19
	v_lshlrev_b32_e32 v9, 4, v9
	v_mov_b32_e32 v18, v14
	v_add_co_u32_e32 v36, vcc, s12, v9
	v_lshlrev_b64 v[14:15], 4, v[17:18]
	v_addc_co_u32_e32 v37, vcc, 0, v22, vcc
	v_add_co_u32_e32 v38, vcc, s24, v14
	v_addc_co_u32_e32 v39, vcc, v20, v15, vcc
	v_subrev_co_u32_e32 v17, vcc, s17, v10
	s_and_b64 s[0:1], s[0:1], exec
	v_subbrev_co_u32_e32 v18, vcc, 0, v11, vcc
	v_subrev_co_u32_e32 v19, vcc, s17, v12
	v_cmp_lt_i64_e64 s[0:1], v[10:11], v[12:13]
	s_cselect_b32 s16, 16, 32
	v_subbrev_co_u32_e32 v20, vcc, 0, v13, vcc
	s_cselect_b32 s24, 24, 40
	s_branch .LBB61_7
.LBB61_6:                               ;   in Loop: Header=BB61_7 Depth=1
	s_or_b64 exec, exec, s[2:3]
	s_add_i32 s23, s23, 8
	s_cmp_lt_i32 s23, s22
	s_cbranch_scc0 .LBB61_27
.LBB61_7:                               ; =>This Loop Header: Depth=1
                                        ;     Child Loop BB61_10 Depth 2
                                        ;       Child Loop BB61_14 Depth 3
	v_or_b32_e32 v21, s23, v31
	v_mov_b32_e32 v23, 0
	v_mov_b32_e32 v25, 0
	v_mov_b32_e32 v24, 0
	v_mov_b32_e32 v26, 0
	v_ashrrev_i32_e32 v22, 31, v21
	s_and_saveexec_b64 s[12:13], s[0:1]
	s_cbranch_execz .LBB61_16
; %bb.8:                                ;   in Loop: Header=BB61_7 Depth=1
	v_lshlrev_b64 v[9:10], 4, v[21:22]
	v_mov_b32_e32 v11, s15
	v_add_co_u32_e64 v41, s[2:3], s14, v9
	v_mov_b32_e32 v23, 0
	v_mov_b32_e32 v25, 0
	;; [unrolled: 1-line block ×3, first 2 shown]
	v_cmp_gt_i32_e32 vcc, s22, v21
	v_addc_co_u32_e64 v42, s[2:3], v11, v10, s[2:3]
	v_mov_b32_e32 v24, 0
	s_mov_b64 s[18:19], 0
	v_mov_b32_e32 v26, 0
	v_mov_b32_e32 v27, v17
	s_branch .LBB61_10
.LBB61_9:                               ;   in Loop: Header=BB61_10 Depth=2
	s_or_b64 exec, exec, s[20:21]
	v_add_co_u32_e64 v27, s[2:3], 8, v27
	v_addc_co_u32_e64 v28, s[2:3], 0, v28, s[2:3]
	v_cmp_ge_i64_e64 s[2:3], v[27:28], v[19:20]
	s_or_b64 s[18:19], s[2:3], s[18:19]
	s_andn2_b64 exec, exec, s[18:19]
	s_cbranch_execz .LBB61_15
.LBB61_10:                              ;   Parent Loop BB61_7 Depth=1
                                        ; =>  This Loop Header: Depth=2
                                        ;       Child Loop BB61_14 Depth 3
	v_add_co_u32_e64 v29, s[2:3], v27, v31
	v_addc_co_u32_e64 v30, s[2:3], 0, v28, s[2:3]
	v_cmp_lt_i64_e64 s[2:3], v[29:30], v[19:20]
	v_mov_b32_e32 v13, 0
	v_mov_b32_e32 v15, 0
	;; [unrolled: 1-line block ×9, first 2 shown]
	s_and_saveexec_b64 s[20:21], s[2:3]
	s_cbranch_execz .LBB61_12
; %bb.11:                               ;   in Loop: Header=BB61_10 Depth=2
	v_lshlrev_b64 v[9:10], 2, v[29:30]
	v_mov_b32_e32 v11, s11
	v_add_co_u32_e64 v9, s[2:3], s10, v9
	v_addc_co_u32_e64 v10, s[2:3], v11, v10, s[2:3]
	global_load_dword v47, v[9:10], off
	v_lshlrev_b64 v[9:10], 6, v[29:30]
	v_add_co_u32_e64 v29, s[2:3], v36, v9
	v_addc_co_u32_e64 v30, s[2:3], v37, v10, s[2:3]
	v_add_co_u32_e64 v43, s[2:3], s16, v29
	v_addc_co_u32_e64 v44, s[2:3], 0, v30, s[2:3]
	;; [unrolled: 2-line block ×3, first 2 shown]
	global_load_dwordx4 v[13:16], v[29:30], off
	global_load_dwordx2 v[9:10], v[43:44], off
	global_load_dwordx2 v[11:12], v[45:46], off
	s_waitcnt vmcnt(3)
	v_subrev_u32_e32 v29, s17, v47
	v_lshlrev_b32_e32 v43, 1, v29
.LBB61_12:                              ;   in Loop: Header=BB61_10 Depth=2
	s_or_b64 exec, exec, s[20:21]
	ds_write_b32 v33, v43
	s_waitcnt vmcnt(2)
	ds_write_b128 v40, v[13:16]
	s_waitcnt vmcnt(0)
	ds_write_b128 v40, v[9:12] offset:16
	s_waitcnt lgkmcnt(0)
	; wave barrier
	s_and_saveexec_b64 s[20:21], vcc
	s_cbranch_execz .LBB61_9
; %bb.13:                               ;   in Loop: Header=BB61_10 Depth=2
	s_mov_b32 s25, 0
	v_mov_b32_e32 v9, v32
.LBB61_14:                              ;   Parent Loop BB61_7 Depth=1
                                        ;     Parent Loop BB61_10 Depth=2
                                        ; =>    This Inner Loop Header: Depth=3
	v_add_u32_e32 v10, s25, v0
	ds_read_b64 v[13:14], v10
	s_add_i32 s25, s25, 8
	s_cmp_lg_u32 s25, 32
	s_waitcnt lgkmcnt(0)
	v_ashrrev_i32_e32 v12, 31, v13
	v_mul_lo_u32 v15, s7, v13
	v_mad_u64_u32 v[10:11], s[2:3], s6, v13, 0
	v_mul_lo_u32 v12, s6, v12
	v_add_u32_e32 v16, 1, v13
	v_ashrrev_i32_e32 v30, 31, v16
	v_mul_lo_u32 v43, s7, v16
	v_add3_u32 v11, v11, v12, v15
	v_lshlrev_b64 v[10:11], 4, v[10:11]
	v_mul_lo_u32 v30, s6, v30
	v_add_co_u32_e64 v10, s[2:3], v41, v10
	v_addc_co_u32_e64 v11, s[2:3], v42, v11, s[2:3]
	global_load_dwordx4 v[10:13], v[10:11], off
	v_mad_u64_u32 v[15:16], s[2:3], s6, v16, 0
	v_ashrrev_i32_e32 v29, 31, v14
	v_add_u32_e32 v51, 1, v14
	v_add3_u32 v16, v16, v30, v43
	v_lshlrev_b64 v[15:16], 4, v[15:16]
	v_mul_lo_u32 v30, s7, v14
	v_add_co_u32_e64 v15, s[2:3], v41, v15
	v_addc_co_u32_e64 v16, s[2:3], v42, v16, s[2:3]
	global_load_dwordx4 v[43:46], v[15:16], off
	v_mad_u64_u32 v[15:16], s[2:3], s6, v14, 0
	v_mul_lo_u32 v14, s6, v29
	v_mul_lo_u32 v29, s7, v51
	v_add3_u32 v16, v16, v14, v30
	v_lshlrev_b64 v[14:15], 4, v[15:16]
	v_ashrrev_i32_e32 v16, 31, v51
	v_add_co_u32_e64 v14, s[2:3], v41, v14
	v_addc_co_u32_e64 v15, s[2:3], v42, v15, s[2:3]
	global_load_dwordx4 v[47:50], v[14:15], off
	v_mad_u64_u32 v[14:15], s[2:3], s6, v51, 0
	v_mul_lo_u32 v16, s6, v16
	v_add3_u32 v15, v15, v16, v29
	v_lshlrev_b64 v[14:15], 4, v[14:15]
	v_add_co_u32_e64 v14, s[2:3], v41, v14
	v_addc_co_u32_e64 v15, s[2:3], v42, v15, s[2:3]
	global_load_dwordx4 v[51:54], v[14:15], off
	ds_read_b128 v[55:58], v9
	ds_read_b128 v[59:62], v9 offset:16
	s_waitcnt vmcnt(3) lgkmcnt(1)
	v_fma_f64 v[14:15], v[55:56], v[10:11], v[25:26]
	v_fma_f64 v[10:11], v[57:58], v[10:11], v[23:24]
	v_fma_f64 v[14:15], -v[57:58], v[12:13], v[14:15]
	v_fma_f64 v[10:11], v[55:56], v[12:13], v[10:11]
	s_waitcnt vmcnt(2) lgkmcnt(0)
	v_fma_f64 v[12:13], v[59:60], v[43:44], v[14:15]
	v_fma_f64 v[10:11], v[61:62], v[43:44], v[10:11]
	v_fma_f64 v[14:15], -v[61:62], v[45:46], v[12:13]
	v_fma_f64 v[29:30], v[59:60], v[45:46], v[10:11]
	ds_read_b128 v[10:13], v9 offset:48
	ds_read_b128 v[23:26], v9 offset:64
	v_add_u32_e32 v9, 0x60, v9
	s_waitcnt vmcnt(1) lgkmcnt(1)
	v_fma_f64 v[14:15], v[10:11], v[47:48], v[14:15]
	v_fma_f64 v[29:30], v[12:13], v[47:48], v[29:30]
	v_fma_f64 v[12:13], -v[12:13], v[49:50], v[14:15]
	v_fma_f64 v[10:11], v[10:11], v[49:50], v[29:30]
	s_waitcnt vmcnt(0) lgkmcnt(0)
	v_fma_f64 v[12:13], v[23:24], v[51:52], v[12:13]
	v_fma_f64 v[10:11], v[25:26], v[51:52], v[10:11]
	v_fma_f64 v[25:26], -v[25:26], v[53:54], v[12:13]
	v_fma_f64 v[23:24], v[23:24], v[53:54], v[10:11]
	s_cbranch_scc1 .LBB61_14
	s_branch .LBB61_9
.LBB61_15:                              ;   in Loop: Header=BB61_7 Depth=1
	s_or_b64 exec, exec, s[18:19]
.LBB61_16:                              ;   in Loop: Header=BB61_7 Depth=1
	s_or_b64 exec, exec, s[12:13]
	v_cmp_gt_i32_e32 vcc, s22, v21
	s_and_saveexec_b64 s[2:3], vcc
	s_cbranch_execz .LBB61_6
; %bb.17:                               ;   in Loop: Header=BB61_7 Depth=1
	s_and_saveexec_b64 s[12:13], s[4:5]
	s_xor_b64 s[12:13], exec, s[12:13]
	s_cbranch_execz .LBB61_22
; %bb.18:                               ;   in Loop: Header=BB61_7 Depth=1
	s_mov_b64 s[18:19], -1
	s_and_b64 vcc, exec, s[8:9]
	s_cbranch_vccz .LBB61_20
; %bb.19:                               ;   in Loop: Header=BB61_7 Depth=1
	v_lshlrev_b64 v[9:10], 4, v[21:22]
	v_mul_f64 v[15:16], v[23:24], -v[3:4]
	v_add_co_u32_e32 v13, vcc, v38, v9
	v_addc_co_u32_e32 v14, vcc, v39, v10, vcc
	global_load_dwordx4 v[9:12], v[13:14], off
	v_mul_f64 v[27:28], v[1:2], v[23:24]
	s_mov_b64 s[18:19], 0
	v_fma_f64 v[15:16], v[1:2], v[25:26], v[15:16]
	v_fma_f64 v[27:28], v[3:4], v[25:26], v[27:28]
	s_waitcnt vmcnt(0)
	v_fma_f64 v[15:16], v[5:6], v[9:10], v[15:16]
	v_fma_f64 v[27:28], v[7:8], v[9:10], v[27:28]
	v_fma_f64 v[9:10], -v[7:8], v[11:12], v[15:16]
	v_fma_f64 v[11:12], v[5:6], v[11:12], v[27:28]
	global_store_dwordx4 v[13:14], v[9:12], off
.LBB61_20:                              ;   in Loop: Header=BB61_7 Depth=1
	s_andn2_b64 vcc, exec, s[18:19]
	s_cbranch_vccnz .LBB61_22
; %bb.21:                               ;   in Loop: Header=BB61_7 Depth=1
	v_mul_lo_u32 v11, s27, v21
	v_mul_lo_u32 v12, s26, v22
	v_mad_u64_u32 v[9:10], s[18:19], s26, v21, 0
	v_mul_f64 v[15:16], v[23:24], -v[3:4]
	v_mul_f64 v[21:22], v[1:2], v[23:24]
	v_add3_u32 v10, v10, v12, v11
	v_lshlrev_b64 v[9:10], 4, v[9:10]
                                        ; implicit-def: $vgpr23_vgpr24
	v_add_co_u32_e32 v13, vcc, v34, v9
	v_addc_co_u32_e32 v14, vcc, v35, v10, vcc
	global_load_dwordx4 v[9:12], v[13:14], off
	v_fma_f64 v[15:16], v[1:2], v[25:26], v[15:16]
	v_fma_f64 v[21:22], v[3:4], v[25:26], v[21:22]
                                        ; implicit-def: $vgpr25_vgpr26
	s_waitcnt vmcnt(0)
	v_fma_f64 v[15:16], v[5:6], v[9:10], v[15:16]
	v_fma_f64 v[21:22], v[7:8], v[9:10], v[21:22]
	v_fma_f64 v[9:10], -v[7:8], v[11:12], v[15:16]
	v_fma_f64 v[11:12], v[5:6], v[11:12], v[21:22]
                                        ; implicit-def: $vgpr21
	global_store_dwordx4 v[13:14], v[9:12], off
.LBB61_22:                              ;   in Loop: Header=BB61_7 Depth=1
	s_andn2_saveexec_b64 s[12:13], s[12:13]
	s_cbranch_execz .LBB61_6
; %bb.23:                               ;   in Loop: Header=BB61_7 Depth=1
	v_mul_f64 v[9:10], v[23:24], -v[3:4]
	v_mul_f64 v[11:12], v[1:2], v[23:24]
	s_mov_b64 s[12:13], -1
	s_and_b64 vcc, exec, s[8:9]
	v_fma_f64 v[9:10], v[1:2], v[25:26], v[9:10]
	v_fma_f64 v[11:12], v[3:4], v[25:26], v[11:12]
	s_cbranch_vccz .LBB61_25
; %bb.24:                               ;   in Loop: Header=BB61_7 Depth=1
	v_lshlrev_b64 v[13:14], 4, v[21:22]
	s_mov_b64 s[12:13], 0
	v_add_co_u32_e32 v13, vcc, v38, v13
	v_addc_co_u32_e32 v14, vcc, v39, v14, vcc
	global_store_dwordx4 v[13:14], v[9:12], off
.LBB61_25:                              ;   in Loop: Header=BB61_7 Depth=1
	s_andn2_b64 vcc, exec, s[12:13]
	s_cbranch_vccnz .LBB61_6
; %bb.26:                               ;   in Loop: Header=BB61_7 Depth=1
	v_mul_lo_u32 v15, s27, v21
	v_mul_lo_u32 v16, s26, v22
	v_mad_u64_u32 v[13:14], s[12:13], s26, v21, 0
	v_add3_u32 v14, v14, v16, v15
	v_lshlrev_b64 v[13:14], 4, v[13:14]
	v_add_co_u32_e32 v13, vcc, v34, v13
	v_addc_co_u32_e32 v14, vcc, v35, v14, vcc
	global_store_dwordx4 v[13:14], v[9:12], off
	s_branch .LBB61_6
.LBB61_27:
	s_endpgm
	.section	.rodata,"a",@progbits
	.p2align	6, 0x0
	.amdhsa_kernel _ZN9rocsparseL29bsrmmnt_small_blockdim_kernelILj64ELj8ELj2Eli21rocsparse_complex_numIdES2_S2_S2_EEv20rocsparse_direction_T3_S4_llNS_24const_host_device_scalarIT7_EEPKT2_PKS4_PKT4_PKT5_llS7_PT6_ll16rocsparse_order_21rocsparse_index_base_b
		.amdhsa_group_segment_fixed_size 3328
		.amdhsa_private_segment_fixed_size 0
		.amdhsa_kernarg_size 408
		.amdhsa_user_sgpr_count 6
		.amdhsa_user_sgpr_private_segment_buffer 1
		.amdhsa_user_sgpr_dispatch_ptr 0
		.amdhsa_user_sgpr_queue_ptr 0
		.amdhsa_user_sgpr_kernarg_segment_ptr 1
		.amdhsa_user_sgpr_dispatch_id 0
		.amdhsa_user_sgpr_flat_scratch_init 0
		.amdhsa_user_sgpr_private_segment_size 0
		.amdhsa_uses_dynamic_stack 0
		.amdhsa_system_sgpr_private_segment_wavefront_offset 0
		.amdhsa_system_sgpr_workgroup_id_x 1
		.amdhsa_system_sgpr_workgroup_id_y 0
		.amdhsa_system_sgpr_workgroup_id_z 0
		.amdhsa_system_sgpr_workgroup_info 0
		.amdhsa_system_vgpr_workitem_id 0
		.amdhsa_next_free_vgpr 63
		.amdhsa_next_free_sgpr 98
		.amdhsa_reserve_vcc 1
		.amdhsa_reserve_flat_scratch 0
		.amdhsa_float_round_mode_32 0
		.amdhsa_float_round_mode_16_64 0
		.amdhsa_float_denorm_mode_32 3
		.amdhsa_float_denorm_mode_16_64 3
		.amdhsa_dx10_clamp 1
		.amdhsa_ieee_mode 1
		.amdhsa_fp16_overflow 0
		.amdhsa_exception_fp_ieee_invalid_op 0
		.amdhsa_exception_fp_denorm_src 0
		.amdhsa_exception_fp_ieee_div_zero 0
		.amdhsa_exception_fp_ieee_overflow 0
		.amdhsa_exception_fp_ieee_underflow 0
		.amdhsa_exception_fp_ieee_inexact 0
		.amdhsa_exception_int_div_zero 0
	.end_amdhsa_kernel
	.section	.text._ZN9rocsparseL29bsrmmnt_small_blockdim_kernelILj64ELj8ELj2Eli21rocsparse_complex_numIdES2_S2_S2_EEv20rocsparse_direction_T3_S4_llNS_24const_host_device_scalarIT7_EEPKT2_PKS4_PKT4_PKT5_llS7_PT6_ll16rocsparse_order_21rocsparse_index_base_b,"axG",@progbits,_ZN9rocsparseL29bsrmmnt_small_blockdim_kernelILj64ELj8ELj2Eli21rocsparse_complex_numIdES2_S2_S2_EEv20rocsparse_direction_T3_S4_llNS_24const_host_device_scalarIT7_EEPKT2_PKS4_PKT4_PKT5_llS7_PT6_ll16rocsparse_order_21rocsparse_index_base_b,comdat
.Lfunc_end61:
	.size	_ZN9rocsparseL29bsrmmnt_small_blockdim_kernelILj64ELj8ELj2Eli21rocsparse_complex_numIdES2_S2_S2_EEv20rocsparse_direction_T3_S4_llNS_24const_host_device_scalarIT7_EEPKT2_PKS4_PKT4_PKT5_llS7_PT6_ll16rocsparse_order_21rocsparse_index_base_b, .Lfunc_end61-_ZN9rocsparseL29bsrmmnt_small_blockdim_kernelILj64ELj8ELj2Eli21rocsparse_complex_numIdES2_S2_S2_EEv20rocsparse_direction_T3_S4_llNS_24const_host_device_scalarIT7_EEPKT2_PKS4_PKT4_PKT5_llS7_PT6_ll16rocsparse_order_21rocsparse_index_base_b
                                        ; -- End function
	.set _ZN9rocsparseL29bsrmmnt_small_blockdim_kernelILj64ELj8ELj2Eli21rocsparse_complex_numIdES2_S2_S2_EEv20rocsparse_direction_T3_S4_llNS_24const_host_device_scalarIT7_EEPKT2_PKS4_PKT4_PKT5_llS7_PT6_ll16rocsparse_order_21rocsparse_index_base_b.num_vgpr, 63
	.set _ZN9rocsparseL29bsrmmnt_small_blockdim_kernelILj64ELj8ELj2Eli21rocsparse_complex_numIdES2_S2_S2_EEv20rocsparse_direction_T3_S4_llNS_24const_host_device_scalarIT7_EEPKT2_PKS4_PKT4_PKT5_llS7_PT6_ll16rocsparse_order_21rocsparse_index_base_b.num_agpr, 0
	.set _ZN9rocsparseL29bsrmmnt_small_blockdim_kernelILj64ELj8ELj2Eli21rocsparse_complex_numIdES2_S2_S2_EEv20rocsparse_direction_T3_S4_llNS_24const_host_device_scalarIT7_EEPKT2_PKS4_PKT4_PKT5_llS7_PT6_ll16rocsparse_order_21rocsparse_index_base_b.numbered_sgpr, 28
	.set _ZN9rocsparseL29bsrmmnt_small_blockdim_kernelILj64ELj8ELj2Eli21rocsparse_complex_numIdES2_S2_S2_EEv20rocsparse_direction_T3_S4_llNS_24const_host_device_scalarIT7_EEPKT2_PKS4_PKT4_PKT5_llS7_PT6_ll16rocsparse_order_21rocsparse_index_base_b.num_named_barrier, 0
	.set _ZN9rocsparseL29bsrmmnt_small_blockdim_kernelILj64ELj8ELj2Eli21rocsparse_complex_numIdES2_S2_S2_EEv20rocsparse_direction_T3_S4_llNS_24const_host_device_scalarIT7_EEPKT2_PKS4_PKT4_PKT5_llS7_PT6_ll16rocsparse_order_21rocsparse_index_base_b.private_seg_size, 0
	.set _ZN9rocsparseL29bsrmmnt_small_blockdim_kernelILj64ELj8ELj2Eli21rocsparse_complex_numIdES2_S2_S2_EEv20rocsparse_direction_T3_S4_llNS_24const_host_device_scalarIT7_EEPKT2_PKS4_PKT4_PKT5_llS7_PT6_ll16rocsparse_order_21rocsparse_index_base_b.uses_vcc, 1
	.set _ZN9rocsparseL29bsrmmnt_small_blockdim_kernelILj64ELj8ELj2Eli21rocsparse_complex_numIdES2_S2_S2_EEv20rocsparse_direction_T3_S4_llNS_24const_host_device_scalarIT7_EEPKT2_PKS4_PKT4_PKT5_llS7_PT6_ll16rocsparse_order_21rocsparse_index_base_b.uses_flat_scratch, 0
	.set _ZN9rocsparseL29bsrmmnt_small_blockdim_kernelILj64ELj8ELj2Eli21rocsparse_complex_numIdES2_S2_S2_EEv20rocsparse_direction_T3_S4_llNS_24const_host_device_scalarIT7_EEPKT2_PKS4_PKT4_PKT5_llS7_PT6_ll16rocsparse_order_21rocsparse_index_base_b.has_dyn_sized_stack, 0
	.set _ZN9rocsparseL29bsrmmnt_small_blockdim_kernelILj64ELj8ELj2Eli21rocsparse_complex_numIdES2_S2_S2_EEv20rocsparse_direction_T3_S4_llNS_24const_host_device_scalarIT7_EEPKT2_PKS4_PKT4_PKT5_llS7_PT6_ll16rocsparse_order_21rocsparse_index_base_b.has_recursion, 0
	.set _ZN9rocsparseL29bsrmmnt_small_blockdim_kernelILj64ELj8ELj2Eli21rocsparse_complex_numIdES2_S2_S2_EEv20rocsparse_direction_T3_S4_llNS_24const_host_device_scalarIT7_EEPKT2_PKS4_PKT4_PKT5_llS7_PT6_ll16rocsparse_order_21rocsparse_index_base_b.has_indirect_call, 0
	.section	.AMDGPU.csdata,"",@progbits
; Kernel info:
; codeLenInByte = 1860
; TotalNumSgprs: 32
; NumVgprs: 63
; ScratchSize: 0
; MemoryBound: 0
; FloatMode: 240
; IeeeMode: 1
; LDSByteSize: 3328 bytes/workgroup (compile time only)
; SGPRBlocks: 12
; VGPRBlocks: 15
; NumSGPRsForWavesPerEU: 102
; NumVGPRsForWavesPerEU: 63
; Occupancy: 4
; WaveLimiterHint : 0
; COMPUTE_PGM_RSRC2:SCRATCH_EN: 0
; COMPUTE_PGM_RSRC2:USER_SGPR: 6
; COMPUTE_PGM_RSRC2:TRAP_HANDLER: 0
; COMPUTE_PGM_RSRC2:TGID_X_EN: 1
; COMPUTE_PGM_RSRC2:TGID_Y_EN: 0
; COMPUTE_PGM_RSRC2:TGID_Z_EN: 0
; COMPUTE_PGM_RSRC2:TIDIG_COMP_CNT: 0
	.section	.text._ZN9rocsparseL29bsrmmnt_small_blockdim_kernelILj64ELj16ELj2Eli21rocsparse_complex_numIdES2_S2_S2_EEv20rocsparse_direction_T3_S4_llNS_24const_host_device_scalarIT7_EEPKT2_PKS4_PKT4_PKT5_llS7_PT6_ll16rocsparse_order_21rocsparse_index_base_b,"axG",@progbits,_ZN9rocsparseL29bsrmmnt_small_blockdim_kernelILj64ELj16ELj2Eli21rocsparse_complex_numIdES2_S2_S2_EEv20rocsparse_direction_T3_S4_llNS_24const_host_device_scalarIT7_EEPKT2_PKS4_PKT4_PKT5_llS7_PT6_ll16rocsparse_order_21rocsparse_index_base_b,comdat
	.globl	_ZN9rocsparseL29bsrmmnt_small_blockdim_kernelILj64ELj16ELj2Eli21rocsparse_complex_numIdES2_S2_S2_EEv20rocsparse_direction_T3_S4_llNS_24const_host_device_scalarIT7_EEPKT2_PKS4_PKT4_PKT5_llS7_PT6_ll16rocsparse_order_21rocsparse_index_base_b ; -- Begin function _ZN9rocsparseL29bsrmmnt_small_blockdim_kernelILj64ELj16ELj2Eli21rocsparse_complex_numIdES2_S2_S2_EEv20rocsparse_direction_T3_S4_llNS_24const_host_device_scalarIT7_EEPKT2_PKS4_PKT4_PKT5_llS7_PT6_ll16rocsparse_order_21rocsparse_index_base_b
	.p2align	8
	.type	_ZN9rocsparseL29bsrmmnt_small_blockdim_kernelILj64ELj16ELj2Eli21rocsparse_complex_numIdES2_S2_S2_EEv20rocsparse_direction_T3_S4_llNS_24const_host_device_scalarIT7_EEPKT2_PKS4_PKT4_PKT5_llS7_PT6_ll16rocsparse_order_21rocsparse_index_base_b,@function
_ZN9rocsparseL29bsrmmnt_small_blockdim_kernelILj64ELj16ELj2Eli21rocsparse_complex_numIdES2_S2_S2_EEv20rocsparse_direction_T3_S4_llNS_24const_host_device_scalarIT7_EEPKT2_PKS4_PKT4_PKT5_llS7_PT6_ll16rocsparse_order_21rocsparse_index_base_b: ; @_ZN9rocsparseL29bsrmmnt_small_blockdim_kernelILj64ELj16ELj2Eli21rocsparse_complex_numIdES2_S2_S2_EEv20rocsparse_direction_T3_S4_llNS_24const_host_device_scalarIT7_EEPKT2_PKS4_PKT4_PKT5_llS7_PT6_ll16rocsparse_order_21rocsparse_index_base_b
; %bb.0:
	s_load_dwordx2 s[0:1], s[4:5], 0x20
	s_load_dwordx4 s[16:19], s[4:5], 0x88
	s_add_u32 s7, s4, 32
	s_addc_u32 s8, s5, 0
	s_add_u32 s9, s4, 0x60
	s_addc_u32 s10, s5, 0
	s_waitcnt lgkmcnt(0)
	s_bitcmp1_b32 s18, 0
	s_cselect_b32 s1, s8, s1
	s_cselect_b32 s0, s7, s0
	v_mov_b32_e32 v1, s0
	v_mov_b32_e32 v2, s1
	flat_load_dwordx4 v[1:4], v[1:2]
	s_load_dwordx2 s[2:3], s[4:5], 0x60
	s_waitcnt lgkmcnt(0)
	s_cselect_b32 s0, s10, s3
	s_cselect_b32 s1, s9, s2
	v_mov_b32_e32 v5, s1
	v_mov_b32_e32 v6, s0
	flat_load_dwordx4 v[5:8], v[5:6]
	s_waitcnt vmcnt(0)
	v_cmp_eq_f64_e32 vcc, 0, v[1:2]
	v_cmp_eq_f64_e64 s[0:1], 0, v[3:4]
	s_and_b64 s[8:9], vcc, s[0:1]
	s_mov_b64 s[0:1], -1
	s_and_saveexec_b64 s[2:3], s[8:9]
	s_cbranch_execz .LBB62_2
; %bb.1:
	s_waitcnt lgkmcnt(0)
	v_cmp_neq_f64_e32 vcc, 1.0, v[5:6]
	v_cmp_neq_f64_e64 s[0:1], 0, v[7:8]
	s_or_b64 s[0:1], vcc, s[0:1]
	s_orn2_b64 s[0:1], s[0:1], exec
.LBB62_2:
	s_or_b64 exec, exec, s[2:3]
	s_and_saveexec_b64 s[2:3], s[0:1]
	s_cbranch_execz .LBB62_27
; %bb.3:
	s_load_dword s0, s[4:5], 0xa4
	s_load_dwordx4 s[20:23], s[4:5], 0x0
	s_waitcnt lgkmcnt(0)
	s_and_b32 s0, s0, 0xffff
	s_mul_i32 s6, s6, s0
	v_add_u32_e32 v9, s6, v0
	v_lshrrev_b32_e32 v10, 5, v9
	v_cmp_gt_i32_e32 vcc, s21, v10
	s_and_b64 exec, exec, vcc
	s_cbranch_execz .LBB62_27
; %bb.4:
	s_cmp_lt_i32 s22, 1
	s_cbranch_scc1 .LBB62_27
; %bb.5:
	s_load_dwordx8 s[8:15], s[4:5], 0x30
	v_lshlrev_b32_e32 v10, 3, v10
	v_cmp_neq_f64_e32 vcc, 0, v[5:6]
	v_cmp_neq_f64_e64 s[0:1], 0, v[7:8]
	v_lshrrev_b32_e32 v16, 4, v9
	s_waitcnt lgkmcnt(0)
	global_load_dwordx4 v[10:13], v10, s[8:9]
	s_load_dwordx4 s[24:27], s[4:5], 0x70
	s_load_dwordx2 s[6:7], s[4:5], 0x50
	v_and_b32_e32 v31, 15, v0
	v_lshrrev_b32_e32 v14, 4, v0
	v_mov_b32_e32 v0, 0xc00
	v_lshl_or_b32 v0, v14, 6, v0
	v_mul_u32_u24_e32 v32, 0x300, v14
	s_waitcnt lgkmcnt(0)
	v_mad_u64_u32 v[14:15], s[2:3], s26, v16, 0
	v_bfe_u32 v17, v9, 4, 1
	v_and_b32_e32 v9, -16, v9
	s_or_b64 s[4:5], vcc, s[0:1]
	v_add_co_u32_e64 v34, s[2:3], s24, v9
	s_cmp_lg_u32 s16, 1
	v_mov_b32_e32 v9, v15
	s_cselect_b64 s[8:9], -1, 0
	s_cmp_eq_u32 s20, 0
	v_mov_b32_e32 v20, s13
	v_mov_b32_e32 v18, s25
	;; [unrolled: 1-line block ×3, first 2 shown]
	v_mul_u32_u24_e32 v21, 48, v31
	v_addc_co_u32_e64 v35, s[2:3], 0, v19, s[2:3]
	s_mov_b32 s23, 0
	v_lshl_or_b32 v33, v31, 2, v0
	v_add_u32_e32 v40, v32, v21
	s_waitcnt vmcnt(0)
	v_mad_u64_u32 v[15:16], s[0:1], s27, v16, v[9:10]
	s_cselect_b64 s[0:1], -1, 0
	v_cndmask_b32_e64 v9, 0, 1, s[0:1]
	v_lshlrev_b32_e32 v9, v9, v17
	v_lshlrev_b32_e32 v9, 4, v9
	v_add_co_u32_e32 v36, vcc, s12, v9
	v_lshlrev_b64 v[14:15], 4, v[14:15]
	v_addc_co_u32_e32 v37, vcc, 0, v20, vcc
	v_add_co_u32_e32 v38, vcc, s24, v14
	v_addc_co_u32_e32 v39, vcc, v18, v15, vcc
	v_subrev_co_u32_e32 v17, vcc, s17, v10
	s_and_b64 s[0:1], s[0:1], exec
	v_subbrev_co_u32_e32 v18, vcc, 0, v11, vcc
	v_subrev_co_u32_e32 v19, vcc, s17, v12
	v_cmp_lt_i64_e64 s[0:1], v[10:11], v[12:13]
	s_cselect_b32 s16, 16, 32
	v_subbrev_co_u32_e32 v20, vcc, 0, v13, vcc
	s_cselect_b32 s24, 24, 40
	s_branch .LBB62_7
.LBB62_6:                               ;   in Loop: Header=BB62_7 Depth=1
	s_or_b64 exec, exec, s[2:3]
	s_add_i32 s23, s23, 16
	s_cmp_lt_i32 s23, s22
	s_cbranch_scc0 .LBB62_27
.LBB62_7:                               ; =>This Loop Header: Depth=1
                                        ;     Child Loop BB62_10 Depth 2
                                        ;       Child Loop BB62_14 Depth 3
	v_or_b32_e32 v21, s23, v31
	v_mov_b32_e32 v23, 0
	v_mov_b32_e32 v25, 0
	;; [unrolled: 1-line block ×4, first 2 shown]
	v_ashrrev_i32_e32 v22, 31, v21
	s_and_saveexec_b64 s[12:13], s[0:1]
	s_cbranch_execz .LBB62_16
; %bb.8:                                ;   in Loop: Header=BB62_7 Depth=1
	v_lshlrev_b64 v[9:10], 4, v[21:22]
	v_mov_b32_e32 v11, s15
	v_add_co_u32_e64 v41, s[2:3], s14, v9
	v_mov_b32_e32 v23, 0
	v_mov_b32_e32 v25, 0
	;; [unrolled: 1-line block ×3, first 2 shown]
	v_cmp_gt_i32_e32 vcc, s22, v21
	v_addc_co_u32_e64 v42, s[2:3], v11, v10, s[2:3]
	v_mov_b32_e32 v24, 0
	s_mov_b64 s[18:19], 0
	v_mov_b32_e32 v26, 0
	v_mov_b32_e32 v27, v17
	s_branch .LBB62_10
.LBB62_9:                               ;   in Loop: Header=BB62_10 Depth=2
	s_or_b64 exec, exec, s[20:21]
	v_add_co_u32_e64 v27, s[2:3], 16, v27
	v_addc_co_u32_e64 v28, s[2:3], 0, v28, s[2:3]
	v_cmp_ge_i64_e64 s[2:3], v[27:28], v[19:20]
	s_or_b64 s[18:19], s[2:3], s[18:19]
	s_andn2_b64 exec, exec, s[18:19]
	s_cbranch_execz .LBB62_15
.LBB62_10:                              ;   Parent Loop BB62_7 Depth=1
                                        ; =>  This Loop Header: Depth=2
                                        ;       Child Loop BB62_14 Depth 3
	v_add_co_u32_e64 v29, s[2:3], v27, v31
	v_addc_co_u32_e64 v30, s[2:3], 0, v28, s[2:3]
	v_cmp_lt_i64_e64 s[2:3], v[29:30], v[19:20]
	v_mov_b32_e32 v13, 0
	v_mov_b32_e32 v15, 0
	;; [unrolled: 1-line block ×9, first 2 shown]
	s_and_saveexec_b64 s[20:21], s[2:3]
	s_cbranch_execz .LBB62_12
; %bb.11:                               ;   in Loop: Header=BB62_10 Depth=2
	v_lshlrev_b64 v[9:10], 2, v[29:30]
	v_mov_b32_e32 v11, s11
	v_add_co_u32_e64 v9, s[2:3], s10, v9
	v_addc_co_u32_e64 v10, s[2:3], v11, v10, s[2:3]
	global_load_dword v47, v[9:10], off
	v_lshlrev_b64 v[9:10], 6, v[29:30]
	v_add_co_u32_e64 v29, s[2:3], v36, v9
	v_addc_co_u32_e64 v30, s[2:3], v37, v10, s[2:3]
	v_add_co_u32_e64 v43, s[2:3], s16, v29
	v_addc_co_u32_e64 v44, s[2:3], 0, v30, s[2:3]
	v_add_co_u32_e64 v45, s[2:3], s24, v29
	v_addc_co_u32_e64 v46, s[2:3], 0, v30, s[2:3]
	global_load_dwordx4 v[13:16], v[29:30], off
	global_load_dwordx2 v[9:10], v[43:44], off
	global_load_dwordx2 v[11:12], v[45:46], off
	s_waitcnt vmcnt(3)
	v_subrev_u32_e32 v29, s17, v47
	v_lshlrev_b32_e32 v43, 1, v29
.LBB62_12:                              ;   in Loop: Header=BB62_10 Depth=2
	s_or_b64 exec, exec, s[20:21]
	ds_write_b32 v33, v43
	s_waitcnt vmcnt(2)
	ds_write_b128 v40, v[13:16]
	s_waitcnt vmcnt(0)
	ds_write_b128 v40, v[9:12] offset:16
	s_waitcnt lgkmcnt(0)
	; wave barrier
	s_and_saveexec_b64 s[20:21], vcc
	s_cbranch_execz .LBB62_9
; %bb.13:                               ;   in Loop: Header=BB62_10 Depth=2
	s_mov_b32 s25, 0
	v_mov_b32_e32 v9, v32
.LBB62_14:                              ;   Parent Loop BB62_7 Depth=1
                                        ;     Parent Loop BB62_10 Depth=2
                                        ; =>    This Inner Loop Header: Depth=3
	v_add_u32_e32 v10, s25, v0
	ds_read_b64 v[13:14], v10
	s_add_i32 s25, s25, 8
	s_cmp_lg_u32 s25, 64
	s_waitcnt lgkmcnt(0)
	v_ashrrev_i32_e32 v12, 31, v13
	v_mul_lo_u32 v15, s7, v13
	v_mad_u64_u32 v[10:11], s[2:3], s6, v13, 0
	v_mul_lo_u32 v12, s6, v12
	v_add_u32_e32 v16, 1, v13
	v_ashrrev_i32_e32 v30, 31, v16
	v_mul_lo_u32 v43, s7, v16
	v_add3_u32 v11, v11, v12, v15
	v_lshlrev_b64 v[10:11], 4, v[10:11]
	v_mul_lo_u32 v30, s6, v30
	v_add_co_u32_e64 v10, s[2:3], v41, v10
	v_addc_co_u32_e64 v11, s[2:3], v42, v11, s[2:3]
	global_load_dwordx4 v[10:13], v[10:11], off
	v_mad_u64_u32 v[15:16], s[2:3], s6, v16, 0
	v_ashrrev_i32_e32 v29, 31, v14
	v_add_u32_e32 v51, 1, v14
	v_add3_u32 v16, v16, v30, v43
	v_lshlrev_b64 v[15:16], 4, v[15:16]
	v_mul_lo_u32 v30, s7, v14
	v_add_co_u32_e64 v15, s[2:3], v41, v15
	v_addc_co_u32_e64 v16, s[2:3], v42, v16, s[2:3]
	global_load_dwordx4 v[43:46], v[15:16], off
	v_mad_u64_u32 v[15:16], s[2:3], s6, v14, 0
	v_mul_lo_u32 v14, s6, v29
	v_mul_lo_u32 v29, s7, v51
	v_add3_u32 v16, v16, v14, v30
	v_lshlrev_b64 v[14:15], 4, v[15:16]
	v_ashrrev_i32_e32 v16, 31, v51
	v_add_co_u32_e64 v14, s[2:3], v41, v14
	v_addc_co_u32_e64 v15, s[2:3], v42, v15, s[2:3]
	global_load_dwordx4 v[47:50], v[14:15], off
	v_mad_u64_u32 v[14:15], s[2:3], s6, v51, 0
	v_mul_lo_u32 v16, s6, v16
	v_add3_u32 v15, v15, v16, v29
	v_lshlrev_b64 v[14:15], 4, v[14:15]
	v_add_co_u32_e64 v14, s[2:3], v41, v14
	v_addc_co_u32_e64 v15, s[2:3], v42, v15, s[2:3]
	global_load_dwordx4 v[51:54], v[14:15], off
	ds_read_b128 v[55:58], v9
	ds_read_b128 v[59:62], v9 offset:16
	s_waitcnt vmcnt(3) lgkmcnt(1)
	v_fma_f64 v[14:15], v[55:56], v[10:11], v[25:26]
	v_fma_f64 v[10:11], v[57:58], v[10:11], v[23:24]
	v_fma_f64 v[14:15], -v[57:58], v[12:13], v[14:15]
	v_fma_f64 v[10:11], v[55:56], v[12:13], v[10:11]
	s_waitcnt vmcnt(2) lgkmcnt(0)
	v_fma_f64 v[12:13], v[59:60], v[43:44], v[14:15]
	v_fma_f64 v[10:11], v[61:62], v[43:44], v[10:11]
	v_fma_f64 v[14:15], -v[61:62], v[45:46], v[12:13]
	v_fma_f64 v[29:30], v[59:60], v[45:46], v[10:11]
	ds_read_b128 v[10:13], v9 offset:48
	ds_read_b128 v[23:26], v9 offset:64
	v_add_u32_e32 v9, 0x60, v9
	s_waitcnt vmcnt(1) lgkmcnt(1)
	v_fma_f64 v[14:15], v[10:11], v[47:48], v[14:15]
	v_fma_f64 v[29:30], v[12:13], v[47:48], v[29:30]
	v_fma_f64 v[12:13], -v[12:13], v[49:50], v[14:15]
	v_fma_f64 v[10:11], v[10:11], v[49:50], v[29:30]
	s_waitcnt vmcnt(0) lgkmcnt(0)
	v_fma_f64 v[12:13], v[23:24], v[51:52], v[12:13]
	v_fma_f64 v[10:11], v[25:26], v[51:52], v[10:11]
	v_fma_f64 v[25:26], -v[25:26], v[53:54], v[12:13]
	v_fma_f64 v[23:24], v[23:24], v[53:54], v[10:11]
	s_cbranch_scc1 .LBB62_14
	s_branch .LBB62_9
.LBB62_15:                              ;   in Loop: Header=BB62_7 Depth=1
	s_or_b64 exec, exec, s[18:19]
.LBB62_16:                              ;   in Loop: Header=BB62_7 Depth=1
	s_or_b64 exec, exec, s[12:13]
	v_cmp_gt_i32_e32 vcc, s22, v21
	s_and_saveexec_b64 s[2:3], vcc
	s_cbranch_execz .LBB62_6
; %bb.17:                               ;   in Loop: Header=BB62_7 Depth=1
	s_and_saveexec_b64 s[12:13], s[4:5]
	s_xor_b64 s[12:13], exec, s[12:13]
	s_cbranch_execz .LBB62_22
; %bb.18:                               ;   in Loop: Header=BB62_7 Depth=1
	s_mov_b64 s[18:19], -1
	s_and_b64 vcc, exec, s[8:9]
	s_cbranch_vccz .LBB62_20
; %bb.19:                               ;   in Loop: Header=BB62_7 Depth=1
	v_lshlrev_b64 v[9:10], 4, v[21:22]
	v_mul_f64 v[15:16], v[23:24], -v[3:4]
	v_add_co_u32_e32 v13, vcc, v38, v9
	v_addc_co_u32_e32 v14, vcc, v39, v10, vcc
	global_load_dwordx4 v[9:12], v[13:14], off
	v_mul_f64 v[27:28], v[1:2], v[23:24]
	s_mov_b64 s[18:19], 0
	v_fma_f64 v[15:16], v[1:2], v[25:26], v[15:16]
	v_fma_f64 v[27:28], v[3:4], v[25:26], v[27:28]
	s_waitcnt vmcnt(0)
	v_fma_f64 v[15:16], v[5:6], v[9:10], v[15:16]
	v_fma_f64 v[27:28], v[7:8], v[9:10], v[27:28]
	v_fma_f64 v[9:10], -v[7:8], v[11:12], v[15:16]
	v_fma_f64 v[11:12], v[5:6], v[11:12], v[27:28]
	global_store_dwordx4 v[13:14], v[9:12], off
.LBB62_20:                              ;   in Loop: Header=BB62_7 Depth=1
	s_andn2_b64 vcc, exec, s[18:19]
	s_cbranch_vccnz .LBB62_22
; %bb.21:                               ;   in Loop: Header=BB62_7 Depth=1
	v_mul_lo_u32 v11, s27, v21
	v_mul_lo_u32 v12, s26, v22
	v_mad_u64_u32 v[9:10], s[18:19], s26, v21, 0
	v_mul_f64 v[15:16], v[23:24], -v[3:4]
	v_mul_f64 v[21:22], v[1:2], v[23:24]
	v_add3_u32 v10, v10, v12, v11
	v_lshlrev_b64 v[9:10], 4, v[9:10]
                                        ; implicit-def: $vgpr23_vgpr24
	v_add_co_u32_e32 v13, vcc, v34, v9
	v_addc_co_u32_e32 v14, vcc, v35, v10, vcc
	global_load_dwordx4 v[9:12], v[13:14], off
	v_fma_f64 v[15:16], v[1:2], v[25:26], v[15:16]
	v_fma_f64 v[21:22], v[3:4], v[25:26], v[21:22]
                                        ; implicit-def: $vgpr25_vgpr26
	s_waitcnt vmcnt(0)
	v_fma_f64 v[15:16], v[5:6], v[9:10], v[15:16]
	v_fma_f64 v[21:22], v[7:8], v[9:10], v[21:22]
	v_fma_f64 v[9:10], -v[7:8], v[11:12], v[15:16]
	v_fma_f64 v[11:12], v[5:6], v[11:12], v[21:22]
                                        ; implicit-def: $vgpr21
	global_store_dwordx4 v[13:14], v[9:12], off
.LBB62_22:                              ;   in Loop: Header=BB62_7 Depth=1
	s_andn2_saveexec_b64 s[12:13], s[12:13]
	s_cbranch_execz .LBB62_6
; %bb.23:                               ;   in Loop: Header=BB62_7 Depth=1
	v_mul_f64 v[9:10], v[23:24], -v[3:4]
	v_mul_f64 v[11:12], v[1:2], v[23:24]
	s_mov_b64 s[12:13], -1
	s_and_b64 vcc, exec, s[8:9]
	v_fma_f64 v[9:10], v[1:2], v[25:26], v[9:10]
	v_fma_f64 v[11:12], v[3:4], v[25:26], v[11:12]
	s_cbranch_vccz .LBB62_25
; %bb.24:                               ;   in Loop: Header=BB62_7 Depth=1
	v_lshlrev_b64 v[13:14], 4, v[21:22]
	s_mov_b64 s[12:13], 0
	v_add_co_u32_e32 v13, vcc, v38, v13
	v_addc_co_u32_e32 v14, vcc, v39, v14, vcc
	global_store_dwordx4 v[13:14], v[9:12], off
.LBB62_25:                              ;   in Loop: Header=BB62_7 Depth=1
	s_andn2_b64 vcc, exec, s[12:13]
	s_cbranch_vccnz .LBB62_6
; %bb.26:                               ;   in Loop: Header=BB62_7 Depth=1
	v_mul_lo_u32 v15, s27, v21
	v_mul_lo_u32 v16, s26, v22
	v_mad_u64_u32 v[13:14], s[12:13], s26, v21, 0
	v_add3_u32 v14, v14, v16, v15
	v_lshlrev_b64 v[13:14], 4, v[13:14]
	v_add_co_u32_e32 v13, vcc, v34, v13
	v_addc_co_u32_e32 v14, vcc, v35, v14, vcc
	global_store_dwordx4 v[13:14], v[9:12], off
	s_branch .LBB62_6
.LBB62_27:
	s_endpgm
	.section	.rodata,"a",@progbits
	.p2align	6, 0x0
	.amdhsa_kernel _ZN9rocsparseL29bsrmmnt_small_blockdim_kernelILj64ELj16ELj2Eli21rocsparse_complex_numIdES2_S2_S2_EEv20rocsparse_direction_T3_S4_llNS_24const_host_device_scalarIT7_EEPKT2_PKS4_PKT4_PKT5_llS7_PT6_ll16rocsparse_order_21rocsparse_index_base_b
		.amdhsa_group_segment_fixed_size 3328
		.amdhsa_private_segment_fixed_size 0
		.amdhsa_kernarg_size 408
		.amdhsa_user_sgpr_count 6
		.amdhsa_user_sgpr_private_segment_buffer 1
		.amdhsa_user_sgpr_dispatch_ptr 0
		.amdhsa_user_sgpr_queue_ptr 0
		.amdhsa_user_sgpr_kernarg_segment_ptr 1
		.amdhsa_user_sgpr_dispatch_id 0
		.amdhsa_user_sgpr_flat_scratch_init 0
		.amdhsa_user_sgpr_private_segment_size 0
		.amdhsa_uses_dynamic_stack 0
		.amdhsa_system_sgpr_private_segment_wavefront_offset 0
		.amdhsa_system_sgpr_workgroup_id_x 1
		.amdhsa_system_sgpr_workgroup_id_y 0
		.amdhsa_system_sgpr_workgroup_id_z 0
		.amdhsa_system_sgpr_workgroup_info 0
		.amdhsa_system_vgpr_workitem_id 0
		.amdhsa_next_free_vgpr 63
		.amdhsa_next_free_sgpr 98
		.amdhsa_reserve_vcc 1
		.amdhsa_reserve_flat_scratch 0
		.amdhsa_float_round_mode_32 0
		.amdhsa_float_round_mode_16_64 0
		.amdhsa_float_denorm_mode_32 3
		.amdhsa_float_denorm_mode_16_64 3
		.amdhsa_dx10_clamp 1
		.amdhsa_ieee_mode 1
		.amdhsa_fp16_overflow 0
		.amdhsa_exception_fp_ieee_invalid_op 0
		.amdhsa_exception_fp_denorm_src 0
		.amdhsa_exception_fp_ieee_div_zero 0
		.amdhsa_exception_fp_ieee_overflow 0
		.amdhsa_exception_fp_ieee_underflow 0
		.amdhsa_exception_fp_ieee_inexact 0
		.amdhsa_exception_int_div_zero 0
	.end_amdhsa_kernel
	.section	.text._ZN9rocsparseL29bsrmmnt_small_blockdim_kernelILj64ELj16ELj2Eli21rocsparse_complex_numIdES2_S2_S2_EEv20rocsparse_direction_T3_S4_llNS_24const_host_device_scalarIT7_EEPKT2_PKS4_PKT4_PKT5_llS7_PT6_ll16rocsparse_order_21rocsparse_index_base_b,"axG",@progbits,_ZN9rocsparseL29bsrmmnt_small_blockdim_kernelILj64ELj16ELj2Eli21rocsparse_complex_numIdES2_S2_S2_EEv20rocsparse_direction_T3_S4_llNS_24const_host_device_scalarIT7_EEPKT2_PKS4_PKT4_PKT5_llS7_PT6_ll16rocsparse_order_21rocsparse_index_base_b,comdat
.Lfunc_end62:
	.size	_ZN9rocsparseL29bsrmmnt_small_blockdim_kernelILj64ELj16ELj2Eli21rocsparse_complex_numIdES2_S2_S2_EEv20rocsparse_direction_T3_S4_llNS_24const_host_device_scalarIT7_EEPKT2_PKS4_PKT4_PKT5_llS7_PT6_ll16rocsparse_order_21rocsparse_index_base_b, .Lfunc_end62-_ZN9rocsparseL29bsrmmnt_small_blockdim_kernelILj64ELj16ELj2Eli21rocsparse_complex_numIdES2_S2_S2_EEv20rocsparse_direction_T3_S4_llNS_24const_host_device_scalarIT7_EEPKT2_PKS4_PKT4_PKT5_llS7_PT6_ll16rocsparse_order_21rocsparse_index_base_b
                                        ; -- End function
	.set _ZN9rocsparseL29bsrmmnt_small_blockdim_kernelILj64ELj16ELj2Eli21rocsparse_complex_numIdES2_S2_S2_EEv20rocsparse_direction_T3_S4_llNS_24const_host_device_scalarIT7_EEPKT2_PKS4_PKT4_PKT5_llS7_PT6_ll16rocsparse_order_21rocsparse_index_base_b.num_vgpr, 63
	.set _ZN9rocsparseL29bsrmmnt_small_blockdim_kernelILj64ELj16ELj2Eli21rocsparse_complex_numIdES2_S2_S2_EEv20rocsparse_direction_T3_S4_llNS_24const_host_device_scalarIT7_EEPKT2_PKS4_PKT4_PKT5_llS7_PT6_ll16rocsparse_order_21rocsparse_index_base_b.num_agpr, 0
	.set _ZN9rocsparseL29bsrmmnt_small_blockdim_kernelILj64ELj16ELj2Eli21rocsparse_complex_numIdES2_S2_S2_EEv20rocsparse_direction_T3_S4_llNS_24const_host_device_scalarIT7_EEPKT2_PKS4_PKT4_PKT5_llS7_PT6_ll16rocsparse_order_21rocsparse_index_base_b.numbered_sgpr, 28
	.set _ZN9rocsparseL29bsrmmnt_small_blockdim_kernelILj64ELj16ELj2Eli21rocsparse_complex_numIdES2_S2_S2_EEv20rocsparse_direction_T3_S4_llNS_24const_host_device_scalarIT7_EEPKT2_PKS4_PKT4_PKT5_llS7_PT6_ll16rocsparse_order_21rocsparse_index_base_b.num_named_barrier, 0
	.set _ZN9rocsparseL29bsrmmnt_small_blockdim_kernelILj64ELj16ELj2Eli21rocsparse_complex_numIdES2_S2_S2_EEv20rocsparse_direction_T3_S4_llNS_24const_host_device_scalarIT7_EEPKT2_PKS4_PKT4_PKT5_llS7_PT6_ll16rocsparse_order_21rocsparse_index_base_b.private_seg_size, 0
	.set _ZN9rocsparseL29bsrmmnt_small_blockdim_kernelILj64ELj16ELj2Eli21rocsparse_complex_numIdES2_S2_S2_EEv20rocsparse_direction_T3_S4_llNS_24const_host_device_scalarIT7_EEPKT2_PKS4_PKT4_PKT5_llS7_PT6_ll16rocsparse_order_21rocsparse_index_base_b.uses_vcc, 1
	.set _ZN9rocsparseL29bsrmmnt_small_blockdim_kernelILj64ELj16ELj2Eli21rocsparse_complex_numIdES2_S2_S2_EEv20rocsparse_direction_T3_S4_llNS_24const_host_device_scalarIT7_EEPKT2_PKS4_PKT4_PKT5_llS7_PT6_ll16rocsparse_order_21rocsparse_index_base_b.uses_flat_scratch, 0
	.set _ZN9rocsparseL29bsrmmnt_small_blockdim_kernelILj64ELj16ELj2Eli21rocsparse_complex_numIdES2_S2_S2_EEv20rocsparse_direction_T3_S4_llNS_24const_host_device_scalarIT7_EEPKT2_PKS4_PKT4_PKT5_llS7_PT6_ll16rocsparse_order_21rocsparse_index_base_b.has_dyn_sized_stack, 0
	.set _ZN9rocsparseL29bsrmmnt_small_blockdim_kernelILj64ELj16ELj2Eli21rocsparse_complex_numIdES2_S2_S2_EEv20rocsparse_direction_T3_S4_llNS_24const_host_device_scalarIT7_EEPKT2_PKS4_PKT4_PKT5_llS7_PT6_ll16rocsparse_order_21rocsparse_index_base_b.has_recursion, 0
	.set _ZN9rocsparseL29bsrmmnt_small_blockdim_kernelILj64ELj16ELj2Eli21rocsparse_complex_numIdES2_S2_S2_EEv20rocsparse_direction_T3_S4_llNS_24const_host_device_scalarIT7_EEPKT2_PKS4_PKT4_PKT5_llS7_PT6_ll16rocsparse_order_21rocsparse_index_base_b.has_indirect_call, 0
	.section	.AMDGPU.csdata,"",@progbits
; Kernel info:
; codeLenInByte = 1848
; TotalNumSgprs: 32
; NumVgprs: 63
; ScratchSize: 0
; MemoryBound: 0
; FloatMode: 240
; IeeeMode: 1
; LDSByteSize: 3328 bytes/workgroup (compile time only)
; SGPRBlocks: 12
; VGPRBlocks: 15
; NumSGPRsForWavesPerEU: 102
; NumVGPRsForWavesPerEU: 63
; Occupancy: 4
; WaveLimiterHint : 0
; COMPUTE_PGM_RSRC2:SCRATCH_EN: 0
; COMPUTE_PGM_RSRC2:USER_SGPR: 6
; COMPUTE_PGM_RSRC2:TRAP_HANDLER: 0
; COMPUTE_PGM_RSRC2:TGID_X_EN: 1
; COMPUTE_PGM_RSRC2:TGID_Y_EN: 0
; COMPUTE_PGM_RSRC2:TGID_Z_EN: 0
; COMPUTE_PGM_RSRC2:TIDIG_COMP_CNT: 0
	.section	.text._ZN9rocsparseL29bsrmmnt_small_blockdim_kernelILj64ELj32ELj2Eli21rocsparse_complex_numIdES2_S2_S2_EEv20rocsparse_direction_T3_S4_llNS_24const_host_device_scalarIT7_EEPKT2_PKS4_PKT4_PKT5_llS7_PT6_ll16rocsparse_order_21rocsparse_index_base_b,"axG",@progbits,_ZN9rocsparseL29bsrmmnt_small_blockdim_kernelILj64ELj32ELj2Eli21rocsparse_complex_numIdES2_S2_S2_EEv20rocsparse_direction_T3_S4_llNS_24const_host_device_scalarIT7_EEPKT2_PKS4_PKT4_PKT5_llS7_PT6_ll16rocsparse_order_21rocsparse_index_base_b,comdat
	.globl	_ZN9rocsparseL29bsrmmnt_small_blockdim_kernelILj64ELj32ELj2Eli21rocsparse_complex_numIdES2_S2_S2_EEv20rocsparse_direction_T3_S4_llNS_24const_host_device_scalarIT7_EEPKT2_PKS4_PKT4_PKT5_llS7_PT6_ll16rocsparse_order_21rocsparse_index_base_b ; -- Begin function _ZN9rocsparseL29bsrmmnt_small_blockdim_kernelILj64ELj32ELj2Eli21rocsparse_complex_numIdES2_S2_S2_EEv20rocsparse_direction_T3_S4_llNS_24const_host_device_scalarIT7_EEPKT2_PKS4_PKT4_PKT5_llS7_PT6_ll16rocsparse_order_21rocsparse_index_base_b
	.p2align	8
	.type	_ZN9rocsparseL29bsrmmnt_small_blockdim_kernelILj64ELj32ELj2Eli21rocsparse_complex_numIdES2_S2_S2_EEv20rocsparse_direction_T3_S4_llNS_24const_host_device_scalarIT7_EEPKT2_PKS4_PKT4_PKT5_llS7_PT6_ll16rocsparse_order_21rocsparse_index_base_b,@function
_ZN9rocsparseL29bsrmmnt_small_blockdim_kernelILj64ELj32ELj2Eli21rocsparse_complex_numIdES2_S2_S2_EEv20rocsparse_direction_T3_S4_llNS_24const_host_device_scalarIT7_EEPKT2_PKS4_PKT4_PKT5_llS7_PT6_ll16rocsparse_order_21rocsparse_index_base_b: ; @_ZN9rocsparseL29bsrmmnt_small_blockdim_kernelILj64ELj32ELj2Eli21rocsparse_complex_numIdES2_S2_S2_EEv20rocsparse_direction_T3_S4_llNS_24const_host_device_scalarIT7_EEPKT2_PKS4_PKT4_PKT5_llS7_PT6_ll16rocsparse_order_21rocsparse_index_base_b
; %bb.0:
	s_load_dwordx2 s[0:1], s[4:5], 0x20
	s_load_dwordx4 s[16:19], s[4:5], 0x88
	s_add_u32 s7, s4, 32
	s_addc_u32 s8, s5, 0
	s_add_u32 s9, s4, 0x60
	s_addc_u32 s10, s5, 0
	s_waitcnt lgkmcnt(0)
	s_bitcmp1_b32 s18, 0
	s_cselect_b32 s1, s8, s1
	s_cselect_b32 s0, s7, s0
	v_mov_b32_e32 v1, s0
	v_mov_b32_e32 v2, s1
	flat_load_dwordx4 v[1:4], v[1:2]
	s_load_dwordx2 s[2:3], s[4:5], 0x60
	s_waitcnt lgkmcnt(0)
	s_cselect_b32 s0, s10, s3
	s_cselect_b32 s1, s9, s2
	v_mov_b32_e32 v5, s1
	v_mov_b32_e32 v6, s0
	flat_load_dwordx4 v[5:8], v[5:6]
	s_waitcnt vmcnt(0)
	v_cmp_eq_f64_e32 vcc, 0, v[1:2]
	v_cmp_eq_f64_e64 s[0:1], 0, v[3:4]
	s_and_b64 s[8:9], vcc, s[0:1]
	s_mov_b64 s[0:1], -1
	s_and_saveexec_b64 s[2:3], s[8:9]
	s_cbranch_execz .LBB63_2
; %bb.1:
	s_waitcnt lgkmcnt(0)
	v_cmp_neq_f64_e32 vcc, 1.0, v[5:6]
	v_cmp_neq_f64_e64 s[0:1], 0, v[7:8]
	s_or_b64 s[0:1], vcc, s[0:1]
	s_orn2_b64 s[0:1], s[0:1], exec
.LBB63_2:
	s_or_b64 exec, exec, s[2:3]
	s_and_saveexec_b64 s[2:3], s[0:1]
	s_cbranch_execz .LBB63_27
; %bb.3:
	s_load_dword s0, s[4:5], 0xa4
	s_load_dwordx4 s[20:23], s[4:5], 0x0
	s_waitcnt lgkmcnt(0)
	s_and_b32 s0, s0, 0xffff
	s_mul_i32 s6, s6, s0
	v_add_u32_e32 v9, s6, v0
	v_lshrrev_b32_e32 v10, 6, v9
	v_cmp_gt_i32_e32 vcc, s21, v10
	s_and_b64 exec, exec, vcc
	s_cbranch_execz .LBB63_27
; %bb.4:
	s_cmp_lt_i32 s22, 1
	s_cbranch_scc1 .LBB63_27
; %bb.5:
	s_load_dwordx8 s[8:15], s[4:5], 0x30
	v_lshlrev_b32_e32 v10, 3, v10
	v_cmp_neq_f64_e32 vcc, 0, v[5:6]
	v_cmp_neq_f64_e64 s[0:1], 0, v[7:8]
	v_lshrrev_b32_e32 v16, 5, v9
	s_waitcnt lgkmcnt(0)
	global_load_dwordx4 v[10:13], v10, s[8:9]
	s_load_dwordx4 s[24:27], s[4:5], 0x70
	s_load_dwordx2 s[6:7], s[4:5], 0x50
	v_bfe_u32 v17, v9, 5, 1
	v_and_b32_e32 v31, 31, v0
	v_lshrrev_b32_e32 v9, 5, v0
	s_waitcnt lgkmcnt(0)
	v_mad_u64_u32 v[14:15], s[2:3], s26, v16, 0
	v_mov_b32_e32 v0, 0xc00
	v_lshl_or_b32 v0, v9, 7, v0
	v_mul_u32_u24_e32 v32, 0x600, v9
	v_lshlrev_b32_e32 v9, 4, v16
	s_or_b64 s[4:5], vcc, s[0:1]
	v_add_co_u32_e64 v34, s[2:3], s24, v9
	s_cmp_lg_u32 s16, 1
	v_mov_b32_e32 v9, v15
	s_cselect_b64 s[8:9], -1, 0
	s_cmp_eq_u32 s20, 0
	v_mov_b32_e32 v20, s13
	v_mov_b32_e32 v18, s25
	;; [unrolled: 1-line block ×3, first 2 shown]
	v_mul_u32_u24_e32 v21, 48, v31
	v_addc_co_u32_e64 v35, s[2:3], 0, v19, s[2:3]
	s_mov_b32 s23, 0
	v_lshl_or_b32 v33, v31, 2, v0
	v_add_u32_e32 v40, v32, v21
	s_waitcnt vmcnt(0)
	v_mad_u64_u32 v[15:16], s[0:1], s27, v16, v[9:10]
	s_cselect_b64 s[0:1], -1, 0
	v_cndmask_b32_e64 v9, 0, 1, s[0:1]
	v_lshlrev_b32_e32 v9, v9, v17
	v_lshlrev_b32_e32 v9, 4, v9
	v_add_co_u32_e32 v36, vcc, s12, v9
	v_lshlrev_b64 v[14:15], 4, v[14:15]
	v_addc_co_u32_e32 v37, vcc, 0, v20, vcc
	v_add_co_u32_e32 v38, vcc, s24, v14
	v_addc_co_u32_e32 v39, vcc, v18, v15, vcc
	v_subrev_co_u32_e32 v17, vcc, s17, v10
	s_and_b64 s[0:1], s[0:1], exec
	v_subbrev_co_u32_e32 v18, vcc, 0, v11, vcc
	v_subrev_co_u32_e32 v19, vcc, s17, v12
	v_cmp_lt_i64_e64 s[0:1], v[10:11], v[12:13]
	s_cselect_b32 s16, 16, 32
	v_subbrev_co_u32_e32 v20, vcc, 0, v13, vcc
	s_cselect_b32 s24, 24, 40
	s_branch .LBB63_7
.LBB63_6:                               ;   in Loop: Header=BB63_7 Depth=1
	s_or_b64 exec, exec, s[2:3]
	s_add_i32 s23, s23, 32
	s_cmp_lt_i32 s23, s22
	s_cbranch_scc0 .LBB63_27
.LBB63_7:                               ; =>This Loop Header: Depth=1
                                        ;     Child Loop BB63_10 Depth 2
                                        ;       Child Loop BB63_14 Depth 3
	v_or_b32_e32 v21, s23, v31
	v_mov_b32_e32 v23, 0
	v_mov_b32_e32 v25, 0
	;; [unrolled: 1-line block ×4, first 2 shown]
	v_ashrrev_i32_e32 v22, 31, v21
	s_and_saveexec_b64 s[12:13], s[0:1]
	s_cbranch_execz .LBB63_16
; %bb.8:                                ;   in Loop: Header=BB63_7 Depth=1
	v_lshlrev_b64 v[9:10], 4, v[21:22]
	v_mov_b32_e32 v11, s15
	v_add_co_u32_e64 v41, s[2:3], s14, v9
	v_mov_b32_e32 v23, 0
	v_mov_b32_e32 v25, 0
	;; [unrolled: 1-line block ×3, first 2 shown]
	v_cmp_gt_i32_e32 vcc, s22, v21
	v_addc_co_u32_e64 v42, s[2:3], v11, v10, s[2:3]
	v_mov_b32_e32 v24, 0
	s_mov_b64 s[18:19], 0
	v_mov_b32_e32 v26, 0
	v_mov_b32_e32 v27, v17
	s_branch .LBB63_10
.LBB63_9:                               ;   in Loop: Header=BB63_10 Depth=2
	s_or_b64 exec, exec, s[20:21]
	v_add_co_u32_e64 v27, s[2:3], 32, v27
	v_addc_co_u32_e64 v28, s[2:3], 0, v28, s[2:3]
	v_cmp_ge_i64_e64 s[2:3], v[27:28], v[19:20]
	s_or_b64 s[18:19], s[2:3], s[18:19]
	s_andn2_b64 exec, exec, s[18:19]
	s_cbranch_execz .LBB63_15
.LBB63_10:                              ;   Parent Loop BB63_7 Depth=1
                                        ; =>  This Loop Header: Depth=2
                                        ;       Child Loop BB63_14 Depth 3
	v_add_co_u32_e64 v29, s[2:3], v27, v31
	v_addc_co_u32_e64 v30, s[2:3], 0, v28, s[2:3]
	v_cmp_lt_i64_e64 s[2:3], v[29:30], v[19:20]
	v_mov_b32_e32 v13, 0
	v_mov_b32_e32 v15, 0
	;; [unrolled: 1-line block ×9, first 2 shown]
	s_and_saveexec_b64 s[20:21], s[2:3]
	s_cbranch_execz .LBB63_12
; %bb.11:                               ;   in Loop: Header=BB63_10 Depth=2
	v_lshlrev_b64 v[9:10], 2, v[29:30]
	v_mov_b32_e32 v11, s11
	v_add_co_u32_e64 v9, s[2:3], s10, v9
	v_addc_co_u32_e64 v10, s[2:3], v11, v10, s[2:3]
	global_load_dword v47, v[9:10], off
	v_lshlrev_b64 v[9:10], 6, v[29:30]
	v_add_co_u32_e64 v29, s[2:3], v36, v9
	v_addc_co_u32_e64 v30, s[2:3], v37, v10, s[2:3]
	v_add_co_u32_e64 v43, s[2:3], s16, v29
	v_addc_co_u32_e64 v44, s[2:3], 0, v30, s[2:3]
	;; [unrolled: 2-line block ×3, first 2 shown]
	global_load_dwordx4 v[13:16], v[29:30], off
	global_load_dwordx2 v[9:10], v[43:44], off
	global_load_dwordx2 v[11:12], v[45:46], off
	s_waitcnt vmcnt(3)
	v_subrev_u32_e32 v29, s17, v47
	v_lshlrev_b32_e32 v43, 1, v29
.LBB63_12:                              ;   in Loop: Header=BB63_10 Depth=2
	s_or_b64 exec, exec, s[20:21]
	ds_write_b32 v33, v43
	s_waitcnt vmcnt(2)
	ds_write_b128 v40, v[13:16]
	s_waitcnt vmcnt(0)
	ds_write_b128 v40, v[9:12] offset:16
	s_waitcnt lgkmcnt(0)
	; wave barrier
	s_and_saveexec_b64 s[20:21], vcc
	s_cbranch_execz .LBB63_9
; %bb.13:                               ;   in Loop: Header=BB63_10 Depth=2
	s_mov_b32 s25, 0
	v_mov_b32_e32 v9, v32
.LBB63_14:                              ;   Parent Loop BB63_7 Depth=1
                                        ;     Parent Loop BB63_10 Depth=2
                                        ; =>    This Inner Loop Header: Depth=3
	v_add_u32_e32 v10, s25, v0
	ds_read_b64 v[13:14], v10
	s_add_i32 s25, s25, 8
	s_cmpk_lg_i32 s25, 0x80
	s_waitcnt lgkmcnt(0)
	v_ashrrev_i32_e32 v12, 31, v13
	v_mul_lo_u32 v15, s7, v13
	v_mad_u64_u32 v[10:11], s[2:3], s6, v13, 0
	v_mul_lo_u32 v12, s6, v12
	v_add_u32_e32 v16, 1, v13
	v_ashrrev_i32_e32 v30, 31, v16
	v_mul_lo_u32 v43, s7, v16
	v_add3_u32 v11, v11, v12, v15
	v_lshlrev_b64 v[10:11], 4, v[10:11]
	v_mul_lo_u32 v30, s6, v30
	v_add_co_u32_e64 v10, s[2:3], v41, v10
	v_addc_co_u32_e64 v11, s[2:3], v42, v11, s[2:3]
	global_load_dwordx4 v[10:13], v[10:11], off
	v_mad_u64_u32 v[15:16], s[2:3], s6, v16, 0
	v_ashrrev_i32_e32 v29, 31, v14
	v_add_u32_e32 v51, 1, v14
	v_add3_u32 v16, v16, v30, v43
	v_lshlrev_b64 v[15:16], 4, v[15:16]
	v_mul_lo_u32 v30, s7, v14
	v_add_co_u32_e64 v15, s[2:3], v41, v15
	v_addc_co_u32_e64 v16, s[2:3], v42, v16, s[2:3]
	global_load_dwordx4 v[43:46], v[15:16], off
	v_mad_u64_u32 v[15:16], s[2:3], s6, v14, 0
	v_mul_lo_u32 v14, s6, v29
	v_mul_lo_u32 v29, s7, v51
	v_add3_u32 v16, v16, v14, v30
	v_lshlrev_b64 v[14:15], 4, v[15:16]
	v_ashrrev_i32_e32 v16, 31, v51
	v_add_co_u32_e64 v14, s[2:3], v41, v14
	v_addc_co_u32_e64 v15, s[2:3], v42, v15, s[2:3]
	global_load_dwordx4 v[47:50], v[14:15], off
	v_mad_u64_u32 v[14:15], s[2:3], s6, v51, 0
	v_mul_lo_u32 v16, s6, v16
	v_add3_u32 v15, v15, v16, v29
	v_lshlrev_b64 v[14:15], 4, v[14:15]
	v_add_co_u32_e64 v14, s[2:3], v41, v14
	v_addc_co_u32_e64 v15, s[2:3], v42, v15, s[2:3]
	global_load_dwordx4 v[51:54], v[14:15], off
	ds_read_b128 v[55:58], v9
	ds_read_b128 v[59:62], v9 offset:16
	s_waitcnt vmcnt(3) lgkmcnt(1)
	v_fma_f64 v[14:15], v[55:56], v[10:11], v[25:26]
	v_fma_f64 v[10:11], v[57:58], v[10:11], v[23:24]
	v_fma_f64 v[14:15], -v[57:58], v[12:13], v[14:15]
	v_fma_f64 v[10:11], v[55:56], v[12:13], v[10:11]
	s_waitcnt vmcnt(2) lgkmcnt(0)
	v_fma_f64 v[12:13], v[59:60], v[43:44], v[14:15]
	v_fma_f64 v[10:11], v[61:62], v[43:44], v[10:11]
	v_fma_f64 v[14:15], -v[61:62], v[45:46], v[12:13]
	v_fma_f64 v[29:30], v[59:60], v[45:46], v[10:11]
	ds_read_b128 v[10:13], v9 offset:48
	ds_read_b128 v[23:26], v9 offset:64
	v_add_u32_e32 v9, 0x60, v9
	s_waitcnt vmcnt(1) lgkmcnt(1)
	v_fma_f64 v[14:15], v[10:11], v[47:48], v[14:15]
	v_fma_f64 v[29:30], v[12:13], v[47:48], v[29:30]
	v_fma_f64 v[12:13], -v[12:13], v[49:50], v[14:15]
	v_fma_f64 v[10:11], v[10:11], v[49:50], v[29:30]
	s_waitcnt vmcnt(0) lgkmcnt(0)
	v_fma_f64 v[12:13], v[23:24], v[51:52], v[12:13]
	v_fma_f64 v[10:11], v[25:26], v[51:52], v[10:11]
	v_fma_f64 v[25:26], -v[25:26], v[53:54], v[12:13]
	v_fma_f64 v[23:24], v[23:24], v[53:54], v[10:11]
	s_cbranch_scc1 .LBB63_14
	s_branch .LBB63_9
.LBB63_15:                              ;   in Loop: Header=BB63_7 Depth=1
	s_or_b64 exec, exec, s[18:19]
.LBB63_16:                              ;   in Loop: Header=BB63_7 Depth=1
	s_or_b64 exec, exec, s[12:13]
	v_cmp_gt_i32_e32 vcc, s22, v21
	s_and_saveexec_b64 s[2:3], vcc
	s_cbranch_execz .LBB63_6
; %bb.17:                               ;   in Loop: Header=BB63_7 Depth=1
	s_and_saveexec_b64 s[12:13], s[4:5]
	s_xor_b64 s[12:13], exec, s[12:13]
	s_cbranch_execz .LBB63_22
; %bb.18:                               ;   in Loop: Header=BB63_7 Depth=1
	s_mov_b64 s[18:19], -1
	s_and_b64 vcc, exec, s[8:9]
	s_cbranch_vccz .LBB63_20
; %bb.19:                               ;   in Loop: Header=BB63_7 Depth=1
	v_lshlrev_b64 v[9:10], 4, v[21:22]
	v_mul_f64 v[15:16], v[23:24], -v[3:4]
	v_add_co_u32_e32 v13, vcc, v38, v9
	v_addc_co_u32_e32 v14, vcc, v39, v10, vcc
	global_load_dwordx4 v[9:12], v[13:14], off
	v_mul_f64 v[27:28], v[1:2], v[23:24]
	s_mov_b64 s[18:19], 0
	v_fma_f64 v[15:16], v[1:2], v[25:26], v[15:16]
	v_fma_f64 v[27:28], v[3:4], v[25:26], v[27:28]
	s_waitcnt vmcnt(0)
	v_fma_f64 v[15:16], v[5:6], v[9:10], v[15:16]
	v_fma_f64 v[27:28], v[7:8], v[9:10], v[27:28]
	v_fma_f64 v[9:10], -v[7:8], v[11:12], v[15:16]
	v_fma_f64 v[11:12], v[5:6], v[11:12], v[27:28]
	global_store_dwordx4 v[13:14], v[9:12], off
.LBB63_20:                              ;   in Loop: Header=BB63_7 Depth=1
	s_andn2_b64 vcc, exec, s[18:19]
	s_cbranch_vccnz .LBB63_22
; %bb.21:                               ;   in Loop: Header=BB63_7 Depth=1
	v_mul_lo_u32 v11, s27, v21
	v_mul_lo_u32 v12, s26, v22
	v_mad_u64_u32 v[9:10], s[18:19], s26, v21, 0
	v_mul_f64 v[15:16], v[23:24], -v[3:4]
	v_mul_f64 v[21:22], v[1:2], v[23:24]
	v_add3_u32 v10, v10, v12, v11
	v_lshlrev_b64 v[9:10], 4, v[9:10]
                                        ; implicit-def: $vgpr23_vgpr24
	v_add_co_u32_e32 v13, vcc, v34, v9
	v_addc_co_u32_e32 v14, vcc, v35, v10, vcc
	global_load_dwordx4 v[9:12], v[13:14], off
	v_fma_f64 v[15:16], v[1:2], v[25:26], v[15:16]
	v_fma_f64 v[21:22], v[3:4], v[25:26], v[21:22]
                                        ; implicit-def: $vgpr25_vgpr26
	s_waitcnt vmcnt(0)
	v_fma_f64 v[15:16], v[5:6], v[9:10], v[15:16]
	v_fma_f64 v[21:22], v[7:8], v[9:10], v[21:22]
	v_fma_f64 v[9:10], -v[7:8], v[11:12], v[15:16]
	v_fma_f64 v[11:12], v[5:6], v[11:12], v[21:22]
                                        ; implicit-def: $vgpr21
	global_store_dwordx4 v[13:14], v[9:12], off
.LBB63_22:                              ;   in Loop: Header=BB63_7 Depth=1
	s_andn2_saveexec_b64 s[12:13], s[12:13]
	s_cbranch_execz .LBB63_6
; %bb.23:                               ;   in Loop: Header=BB63_7 Depth=1
	v_mul_f64 v[9:10], v[23:24], -v[3:4]
	v_mul_f64 v[11:12], v[1:2], v[23:24]
	s_mov_b64 s[12:13], -1
	s_and_b64 vcc, exec, s[8:9]
	v_fma_f64 v[9:10], v[1:2], v[25:26], v[9:10]
	v_fma_f64 v[11:12], v[3:4], v[25:26], v[11:12]
	s_cbranch_vccz .LBB63_25
; %bb.24:                               ;   in Loop: Header=BB63_7 Depth=1
	v_lshlrev_b64 v[13:14], 4, v[21:22]
	s_mov_b64 s[12:13], 0
	v_add_co_u32_e32 v13, vcc, v38, v13
	v_addc_co_u32_e32 v14, vcc, v39, v14, vcc
	global_store_dwordx4 v[13:14], v[9:12], off
.LBB63_25:                              ;   in Loop: Header=BB63_7 Depth=1
	s_andn2_b64 vcc, exec, s[12:13]
	s_cbranch_vccnz .LBB63_6
; %bb.26:                               ;   in Loop: Header=BB63_7 Depth=1
	v_mul_lo_u32 v15, s27, v21
	v_mul_lo_u32 v16, s26, v22
	v_mad_u64_u32 v[13:14], s[12:13], s26, v21, 0
	v_add3_u32 v14, v14, v16, v15
	v_lshlrev_b64 v[13:14], 4, v[13:14]
	v_add_co_u32_e32 v13, vcc, v34, v13
	v_addc_co_u32_e32 v14, vcc, v35, v14, vcc
	global_store_dwordx4 v[13:14], v[9:12], off
	s_branch .LBB63_6
.LBB63_27:
	s_endpgm
	.section	.rodata,"a",@progbits
	.p2align	6, 0x0
	.amdhsa_kernel _ZN9rocsparseL29bsrmmnt_small_blockdim_kernelILj64ELj32ELj2Eli21rocsparse_complex_numIdES2_S2_S2_EEv20rocsparse_direction_T3_S4_llNS_24const_host_device_scalarIT7_EEPKT2_PKS4_PKT4_PKT5_llS7_PT6_ll16rocsparse_order_21rocsparse_index_base_b
		.amdhsa_group_segment_fixed_size 3328
		.amdhsa_private_segment_fixed_size 0
		.amdhsa_kernarg_size 408
		.amdhsa_user_sgpr_count 6
		.amdhsa_user_sgpr_private_segment_buffer 1
		.amdhsa_user_sgpr_dispatch_ptr 0
		.amdhsa_user_sgpr_queue_ptr 0
		.amdhsa_user_sgpr_kernarg_segment_ptr 1
		.amdhsa_user_sgpr_dispatch_id 0
		.amdhsa_user_sgpr_flat_scratch_init 0
		.amdhsa_user_sgpr_private_segment_size 0
		.amdhsa_uses_dynamic_stack 0
		.amdhsa_system_sgpr_private_segment_wavefront_offset 0
		.amdhsa_system_sgpr_workgroup_id_x 1
		.amdhsa_system_sgpr_workgroup_id_y 0
		.amdhsa_system_sgpr_workgroup_id_z 0
		.amdhsa_system_sgpr_workgroup_info 0
		.amdhsa_system_vgpr_workitem_id 0
		.amdhsa_next_free_vgpr 63
		.amdhsa_next_free_sgpr 98
		.amdhsa_reserve_vcc 1
		.amdhsa_reserve_flat_scratch 0
		.amdhsa_float_round_mode_32 0
		.amdhsa_float_round_mode_16_64 0
		.amdhsa_float_denorm_mode_32 3
		.amdhsa_float_denorm_mode_16_64 3
		.amdhsa_dx10_clamp 1
		.amdhsa_ieee_mode 1
		.amdhsa_fp16_overflow 0
		.amdhsa_exception_fp_ieee_invalid_op 0
		.amdhsa_exception_fp_denorm_src 0
		.amdhsa_exception_fp_ieee_div_zero 0
		.amdhsa_exception_fp_ieee_overflow 0
		.amdhsa_exception_fp_ieee_underflow 0
		.amdhsa_exception_fp_ieee_inexact 0
		.amdhsa_exception_int_div_zero 0
	.end_amdhsa_kernel
	.section	.text._ZN9rocsparseL29bsrmmnt_small_blockdim_kernelILj64ELj32ELj2Eli21rocsparse_complex_numIdES2_S2_S2_EEv20rocsparse_direction_T3_S4_llNS_24const_host_device_scalarIT7_EEPKT2_PKS4_PKT4_PKT5_llS7_PT6_ll16rocsparse_order_21rocsparse_index_base_b,"axG",@progbits,_ZN9rocsparseL29bsrmmnt_small_blockdim_kernelILj64ELj32ELj2Eli21rocsparse_complex_numIdES2_S2_S2_EEv20rocsparse_direction_T3_S4_llNS_24const_host_device_scalarIT7_EEPKT2_PKS4_PKT4_PKT5_llS7_PT6_ll16rocsparse_order_21rocsparse_index_base_b,comdat
.Lfunc_end63:
	.size	_ZN9rocsparseL29bsrmmnt_small_blockdim_kernelILj64ELj32ELj2Eli21rocsparse_complex_numIdES2_S2_S2_EEv20rocsparse_direction_T3_S4_llNS_24const_host_device_scalarIT7_EEPKT2_PKS4_PKT4_PKT5_llS7_PT6_ll16rocsparse_order_21rocsparse_index_base_b, .Lfunc_end63-_ZN9rocsparseL29bsrmmnt_small_blockdim_kernelILj64ELj32ELj2Eli21rocsparse_complex_numIdES2_S2_S2_EEv20rocsparse_direction_T3_S4_llNS_24const_host_device_scalarIT7_EEPKT2_PKS4_PKT4_PKT5_llS7_PT6_ll16rocsparse_order_21rocsparse_index_base_b
                                        ; -- End function
	.set _ZN9rocsparseL29bsrmmnt_small_blockdim_kernelILj64ELj32ELj2Eli21rocsparse_complex_numIdES2_S2_S2_EEv20rocsparse_direction_T3_S4_llNS_24const_host_device_scalarIT7_EEPKT2_PKS4_PKT4_PKT5_llS7_PT6_ll16rocsparse_order_21rocsparse_index_base_b.num_vgpr, 63
	.set _ZN9rocsparseL29bsrmmnt_small_blockdim_kernelILj64ELj32ELj2Eli21rocsparse_complex_numIdES2_S2_S2_EEv20rocsparse_direction_T3_S4_llNS_24const_host_device_scalarIT7_EEPKT2_PKS4_PKT4_PKT5_llS7_PT6_ll16rocsparse_order_21rocsparse_index_base_b.num_agpr, 0
	.set _ZN9rocsparseL29bsrmmnt_small_blockdim_kernelILj64ELj32ELj2Eli21rocsparse_complex_numIdES2_S2_S2_EEv20rocsparse_direction_T3_S4_llNS_24const_host_device_scalarIT7_EEPKT2_PKS4_PKT4_PKT5_llS7_PT6_ll16rocsparse_order_21rocsparse_index_base_b.numbered_sgpr, 28
	.set _ZN9rocsparseL29bsrmmnt_small_blockdim_kernelILj64ELj32ELj2Eli21rocsparse_complex_numIdES2_S2_S2_EEv20rocsparse_direction_T3_S4_llNS_24const_host_device_scalarIT7_EEPKT2_PKS4_PKT4_PKT5_llS7_PT6_ll16rocsparse_order_21rocsparse_index_base_b.num_named_barrier, 0
	.set _ZN9rocsparseL29bsrmmnt_small_blockdim_kernelILj64ELj32ELj2Eli21rocsparse_complex_numIdES2_S2_S2_EEv20rocsparse_direction_T3_S4_llNS_24const_host_device_scalarIT7_EEPKT2_PKS4_PKT4_PKT5_llS7_PT6_ll16rocsparse_order_21rocsparse_index_base_b.private_seg_size, 0
	.set _ZN9rocsparseL29bsrmmnt_small_blockdim_kernelILj64ELj32ELj2Eli21rocsparse_complex_numIdES2_S2_S2_EEv20rocsparse_direction_T3_S4_llNS_24const_host_device_scalarIT7_EEPKT2_PKS4_PKT4_PKT5_llS7_PT6_ll16rocsparse_order_21rocsparse_index_base_b.uses_vcc, 1
	.set _ZN9rocsparseL29bsrmmnt_small_blockdim_kernelILj64ELj32ELj2Eli21rocsparse_complex_numIdES2_S2_S2_EEv20rocsparse_direction_T3_S4_llNS_24const_host_device_scalarIT7_EEPKT2_PKS4_PKT4_PKT5_llS7_PT6_ll16rocsparse_order_21rocsparse_index_base_b.uses_flat_scratch, 0
	.set _ZN9rocsparseL29bsrmmnt_small_blockdim_kernelILj64ELj32ELj2Eli21rocsparse_complex_numIdES2_S2_S2_EEv20rocsparse_direction_T3_S4_llNS_24const_host_device_scalarIT7_EEPKT2_PKS4_PKT4_PKT5_llS7_PT6_ll16rocsparse_order_21rocsparse_index_base_b.has_dyn_sized_stack, 0
	.set _ZN9rocsparseL29bsrmmnt_small_blockdim_kernelILj64ELj32ELj2Eli21rocsparse_complex_numIdES2_S2_S2_EEv20rocsparse_direction_T3_S4_llNS_24const_host_device_scalarIT7_EEPKT2_PKS4_PKT4_PKT5_llS7_PT6_ll16rocsparse_order_21rocsparse_index_base_b.has_recursion, 0
	.set _ZN9rocsparseL29bsrmmnt_small_blockdim_kernelILj64ELj32ELj2Eli21rocsparse_complex_numIdES2_S2_S2_EEv20rocsparse_direction_T3_S4_llNS_24const_host_device_scalarIT7_EEPKT2_PKS4_PKT4_PKT5_llS7_PT6_ll16rocsparse_order_21rocsparse_index_base_b.has_indirect_call, 0
	.section	.AMDGPU.csdata,"",@progbits
; Kernel info:
; codeLenInByte = 1848
; TotalNumSgprs: 32
; NumVgprs: 63
; ScratchSize: 0
; MemoryBound: 0
; FloatMode: 240
; IeeeMode: 1
; LDSByteSize: 3328 bytes/workgroup (compile time only)
; SGPRBlocks: 12
; VGPRBlocks: 15
; NumSGPRsForWavesPerEU: 102
; NumVGPRsForWavesPerEU: 63
; Occupancy: 4
; WaveLimiterHint : 0
; COMPUTE_PGM_RSRC2:SCRATCH_EN: 0
; COMPUTE_PGM_RSRC2:USER_SGPR: 6
; COMPUTE_PGM_RSRC2:TRAP_HANDLER: 0
; COMPUTE_PGM_RSRC2:TGID_X_EN: 1
; COMPUTE_PGM_RSRC2:TGID_Y_EN: 0
; COMPUTE_PGM_RSRC2:TGID_Z_EN: 0
; COMPUTE_PGM_RSRC2:TIDIG_COMP_CNT: 0
	.section	.text._ZN9rocsparseL29bsrmmnt_small_blockdim_kernelILj64ELj64ELj2Eli21rocsparse_complex_numIdES2_S2_S2_EEv20rocsparse_direction_T3_S4_llNS_24const_host_device_scalarIT7_EEPKT2_PKS4_PKT4_PKT5_llS7_PT6_ll16rocsparse_order_21rocsparse_index_base_b,"axG",@progbits,_ZN9rocsparseL29bsrmmnt_small_blockdim_kernelILj64ELj64ELj2Eli21rocsparse_complex_numIdES2_S2_S2_EEv20rocsparse_direction_T3_S4_llNS_24const_host_device_scalarIT7_EEPKT2_PKS4_PKT4_PKT5_llS7_PT6_ll16rocsparse_order_21rocsparse_index_base_b,comdat
	.globl	_ZN9rocsparseL29bsrmmnt_small_blockdim_kernelILj64ELj64ELj2Eli21rocsparse_complex_numIdES2_S2_S2_EEv20rocsparse_direction_T3_S4_llNS_24const_host_device_scalarIT7_EEPKT2_PKS4_PKT4_PKT5_llS7_PT6_ll16rocsparse_order_21rocsparse_index_base_b ; -- Begin function _ZN9rocsparseL29bsrmmnt_small_blockdim_kernelILj64ELj64ELj2Eli21rocsparse_complex_numIdES2_S2_S2_EEv20rocsparse_direction_T3_S4_llNS_24const_host_device_scalarIT7_EEPKT2_PKS4_PKT4_PKT5_llS7_PT6_ll16rocsparse_order_21rocsparse_index_base_b
	.p2align	8
	.type	_ZN9rocsparseL29bsrmmnt_small_blockdim_kernelILj64ELj64ELj2Eli21rocsparse_complex_numIdES2_S2_S2_EEv20rocsparse_direction_T3_S4_llNS_24const_host_device_scalarIT7_EEPKT2_PKS4_PKT4_PKT5_llS7_PT6_ll16rocsparse_order_21rocsparse_index_base_b,@function
_ZN9rocsparseL29bsrmmnt_small_blockdim_kernelILj64ELj64ELj2Eli21rocsparse_complex_numIdES2_S2_S2_EEv20rocsparse_direction_T3_S4_llNS_24const_host_device_scalarIT7_EEPKT2_PKS4_PKT4_PKT5_llS7_PT6_ll16rocsparse_order_21rocsparse_index_base_b: ; @_ZN9rocsparseL29bsrmmnt_small_blockdim_kernelILj64ELj64ELj2Eli21rocsparse_complex_numIdES2_S2_S2_EEv20rocsparse_direction_T3_S4_llNS_24const_host_device_scalarIT7_EEPKT2_PKS4_PKT4_PKT5_llS7_PT6_ll16rocsparse_order_21rocsparse_index_base_b
; %bb.0:
	s_load_dwordx2 s[0:1], s[4:5], 0x20
	s_load_dwordx4 s[16:19], s[4:5], 0x88
	s_add_u32 s7, s4, 32
	s_addc_u32 s8, s5, 0
	s_add_u32 s9, s4, 0x60
	s_addc_u32 s10, s5, 0
	s_waitcnt lgkmcnt(0)
	s_bitcmp1_b32 s18, 0
	s_cselect_b32 s1, s8, s1
	s_cselect_b32 s0, s7, s0
	v_mov_b32_e32 v1, s0
	v_mov_b32_e32 v2, s1
	flat_load_dwordx4 v[1:4], v[1:2]
	s_load_dwordx2 s[2:3], s[4:5], 0x60
	s_waitcnt lgkmcnt(0)
	s_cselect_b32 s0, s10, s3
	s_cselect_b32 s1, s9, s2
	v_mov_b32_e32 v5, s1
	v_mov_b32_e32 v6, s0
	flat_load_dwordx4 v[5:8], v[5:6]
	s_waitcnt vmcnt(0)
	v_cmp_eq_f64_e32 vcc, 0, v[1:2]
	v_cmp_eq_f64_e64 s[0:1], 0, v[3:4]
	s_and_b64 s[8:9], vcc, s[0:1]
	s_mov_b64 s[0:1], -1
	s_and_saveexec_b64 s[2:3], s[8:9]
	s_cbranch_execz .LBB64_2
; %bb.1:
	s_waitcnt lgkmcnt(0)
	v_cmp_neq_f64_e32 vcc, 1.0, v[5:6]
	v_cmp_neq_f64_e64 s[0:1], 0, v[7:8]
	s_or_b64 s[0:1], vcc, s[0:1]
	s_orn2_b64 s[0:1], s[0:1], exec
.LBB64_2:
	s_or_b64 exec, exec, s[2:3]
	s_and_saveexec_b64 s[2:3], s[0:1]
	s_cbranch_execz .LBB64_27
; %bb.3:
	s_load_dword s0, s[4:5], 0xa4
	s_load_dwordx4 s[20:23], s[4:5], 0x0
	s_waitcnt lgkmcnt(0)
	s_and_b32 s0, s0, 0xffff
	s_mul_i32 s6, s6, s0
	v_add_u32_e32 v9, s6, v0
	v_lshrrev_b32_e32 v10, 7, v9
	v_cmp_gt_i32_e32 vcc, s21, v10
	s_and_b64 exec, exec, vcc
	s_cbranch_execz .LBB64_27
; %bb.4:
	s_cmp_lt_i32 s22, 1
	s_cbranch_scc1 .LBB64_27
; %bb.5:
	s_load_dwordx8 s[8:15], s[4:5], 0x30
	v_lshlrev_b32_e32 v10, 3, v10
	v_cmp_neq_f64_e32 vcc, 0, v[5:6]
	v_cmp_neq_f64_e64 s[0:1], 0, v[7:8]
	v_lshrrev_b32_e32 v16, 6, v9
	s_waitcnt lgkmcnt(0)
	global_load_dwordx4 v[10:13], v10, s[8:9]
	s_load_dwordx4 s[24:27], s[4:5], 0x70
	s_load_dwordx2 s[6:7], s[4:5], 0x50
	v_bfe_u32 v17, v9, 6, 1
	v_lshlrev_b32_e32 v9, 4, v16
	v_mov_b32_e32 v20, s13
	s_waitcnt lgkmcnt(0)
	v_mad_u64_u32 v[14:15], s[2:3], s26, v16, 0
	s_or_b64 s[4:5], vcc, s[0:1]
	v_add_co_u32_e64 v34, s[2:3], s24, v9
	s_cmp_lg_u32 s16, 1
	v_mov_b32_e32 v9, v15
	s_cselect_b64 s[8:9], -1, 0
	s_cmp_eq_u32 s20, 0
	v_mov_b32_e32 v18, s25
	v_mov_b32_e32 v19, s25
	;; [unrolled: 1-line block ×3, first 2 shown]
	v_addc_co_u32_e64 v35, s[2:3], 0, v19, s[2:3]
	s_mov_b32 s23, 0
	v_mul_u32_u24_e32 v32, 48, v0
	v_lshl_or_b32 v33, v0, 2, v31
	s_waitcnt vmcnt(0)
	v_mad_u64_u32 v[15:16], s[0:1], s27, v16, v[9:10]
	s_cselect_b64 s[0:1], -1, 0
	v_cndmask_b32_e64 v9, 0, 1, s[0:1]
	v_lshlrev_b32_e32 v9, v9, v17
	v_lshlrev_b32_e32 v9, 4, v9
	v_add_co_u32_e32 v36, vcc, s12, v9
	v_lshlrev_b64 v[14:15], 4, v[14:15]
	v_addc_co_u32_e32 v37, vcc, 0, v20, vcc
	v_add_co_u32_e32 v38, vcc, s24, v14
	v_addc_co_u32_e32 v39, vcc, v18, v15, vcc
	v_subrev_co_u32_e32 v17, vcc, s17, v10
	s_and_b64 s[0:1], s[0:1], exec
	v_subbrev_co_u32_e32 v18, vcc, 0, v11, vcc
	v_subrev_co_u32_e32 v19, vcc, s17, v12
	v_cmp_lt_i64_e64 s[0:1], v[10:11], v[12:13]
	v_subbrev_co_u32_e32 v20, vcc, 0, v13, vcc
	s_cselect_b32 s16, 16, 32
	s_cselect_b32 s24, 24, 40
	s_branch .LBB64_7
.LBB64_6:                               ;   in Loop: Header=BB64_7 Depth=1
	s_or_b64 exec, exec, s[2:3]
	s_add_i32 s23, s23, 64
	s_cmp_lt_i32 s23, s22
	s_cbranch_scc0 .LBB64_27
.LBB64_7:                               ; =>This Loop Header: Depth=1
                                        ;     Child Loop BB64_10 Depth 2
                                        ;       Child Loop BB64_14 Depth 3
	v_or_b32_e32 v21, s23, v0
	v_mov_b32_e32 v23, 0
	v_mov_b32_e32 v25, 0
	;; [unrolled: 1-line block ×4, first 2 shown]
	v_ashrrev_i32_e32 v22, 31, v21
	s_and_saveexec_b64 s[12:13], s[0:1]
	s_cbranch_execz .LBB64_16
; %bb.8:                                ;   in Loop: Header=BB64_7 Depth=1
	v_lshlrev_b64 v[9:10], 4, v[21:22]
	v_mov_b32_e32 v11, s15
	v_add_co_u32_e64 v40, s[2:3], s14, v9
	v_mov_b32_e32 v23, 0
	v_mov_b32_e32 v25, 0
	;; [unrolled: 1-line block ×3, first 2 shown]
	v_cmp_gt_i32_e32 vcc, s22, v21
	v_addc_co_u32_e64 v41, s[2:3], v11, v10, s[2:3]
	v_mov_b32_e32 v24, 0
	s_mov_b64 s[18:19], 0
	v_mov_b32_e32 v26, 0
	v_mov_b32_e32 v27, v17
	s_branch .LBB64_10
.LBB64_9:                               ;   in Loop: Header=BB64_10 Depth=2
	s_or_b64 exec, exec, s[20:21]
	v_add_co_u32_e64 v27, s[2:3], 64, v27
	v_addc_co_u32_e64 v28, s[2:3], 0, v28, s[2:3]
	v_cmp_ge_i64_e64 s[2:3], v[27:28], v[19:20]
	s_or_b64 s[18:19], s[2:3], s[18:19]
	s_andn2_b64 exec, exec, s[18:19]
	s_cbranch_execz .LBB64_15
.LBB64_10:                              ;   Parent Loop BB64_7 Depth=1
                                        ; =>  This Loop Header: Depth=2
                                        ;       Child Loop BB64_14 Depth 3
	v_add_co_u32_e64 v29, s[2:3], v27, v0
	v_addc_co_u32_e64 v30, s[2:3], 0, v28, s[2:3]
	v_cmp_lt_i64_e64 s[2:3], v[29:30], v[19:20]
	v_mov_b32_e32 v13, 0
	v_mov_b32_e32 v15, 0
	;; [unrolled: 1-line block ×9, first 2 shown]
	s_and_saveexec_b64 s[20:21], s[2:3]
	s_cbranch_execz .LBB64_12
; %bb.11:                               ;   in Loop: Header=BB64_10 Depth=2
	v_lshlrev_b64 v[9:10], 2, v[29:30]
	v_mov_b32_e32 v11, s11
	v_add_co_u32_e64 v9, s[2:3], s10, v9
	v_addc_co_u32_e64 v10, s[2:3], v11, v10, s[2:3]
	global_load_dword v46, v[9:10], off
	v_lshlrev_b64 v[9:10], 6, v[29:30]
	v_add_co_u32_e64 v29, s[2:3], v36, v9
	v_addc_co_u32_e64 v30, s[2:3], v37, v10, s[2:3]
	v_add_co_u32_e64 v42, s[2:3], s16, v29
	v_addc_co_u32_e64 v43, s[2:3], 0, v30, s[2:3]
	;; [unrolled: 2-line block ×3, first 2 shown]
	global_load_dwordx4 v[13:16], v[29:30], off
	global_load_dwordx2 v[9:10], v[42:43], off
	global_load_dwordx2 v[11:12], v[44:45], off
	s_waitcnt vmcnt(3)
	v_subrev_u32_e32 v29, s17, v46
	v_lshlrev_b32_e32 v42, 1, v29
.LBB64_12:                              ;   in Loop: Header=BB64_10 Depth=2
	s_or_b64 exec, exec, s[20:21]
	ds_write_b32 v33, v42
	s_waitcnt vmcnt(2)
	ds_write_b128 v32, v[13:16]
	s_waitcnt vmcnt(0)
	ds_write_b128 v32, v[9:12] offset:16
	s_waitcnt lgkmcnt(0)
	; wave barrier
	s_and_saveexec_b64 s[20:21], vcc
	s_cbranch_execz .LBB64_9
; %bb.13:                               ;   in Loop: Header=BB64_10 Depth=2
	s_mov_b32 s25, 0
	v_mov_b32_e32 v9, 0
.LBB64_14:                              ;   Parent Loop BB64_7 Depth=1
                                        ;     Parent Loop BB64_10 Depth=2
                                        ; =>    This Inner Loop Header: Depth=3
	v_add_u32_e32 v10, s25, v31
	ds_read_b64 v[13:14], v10
	s_add_i32 s25, s25, 8
	s_cmpk_lg_i32 s25, 0x100
	s_waitcnt lgkmcnt(0)
	v_ashrrev_i32_e32 v12, 31, v13
	v_mul_lo_u32 v15, s7, v13
	v_mad_u64_u32 v[10:11], s[2:3], s6, v13, 0
	v_mul_lo_u32 v12, s6, v12
	v_add_u32_e32 v16, 1, v13
	v_ashrrev_i32_e32 v30, 31, v16
	v_mul_lo_u32 v42, s7, v16
	v_add3_u32 v11, v11, v12, v15
	v_lshlrev_b64 v[10:11], 4, v[10:11]
	v_mul_lo_u32 v30, s6, v30
	v_add_co_u32_e64 v10, s[2:3], v40, v10
	v_addc_co_u32_e64 v11, s[2:3], v41, v11, s[2:3]
	global_load_dwordx4 v[10:13], v[10:11], off
	v_mad_u64_u32 v[15:16], s[2:3], s6, v16, 0
	v_ashrrev_i32_e32 v29, 31, v14
	v_add_u32_e32 v50, 1, v14
	v_add3_u32 v16, v16, v30, v42
	v_lshlrev_b64 v[15:16], 4, v[15:16]
	v_mul_lo_u32 v30, s7, v14
	v_add_co_u32_e64 v15, s[2:3], v40, v15
	v_addc_co_u32_e64 v16, s[2:3], v41, v16, s[2:3]
	global_load_dwordx4 v[42:45], v[15:16], off
	v_mad_u64_u32 v[15:16], s[2:3], s6, v14, 0
	v_mul_lo_u32 v14, s6, v29
	v_mul_lo_u32 v29, s7, v50
	v_add3_u32 v16, v16, v14, v30
	v_lshlrev_b64 v[14:15], 4, v[15:16]
	v_ashrrev_i32_e32 v16, 31, v50
	v_add_co_u32_e64 v14, s[2:3], v40, v14
	v_addc_co_u32_e64 v15, s[2:3], v41, v15, s[2:3]
	global_load_dwordx4 v[46:49], v[14:15], off
	v_mad_u64_u32 v[14:15], s[2:3], s6, v50, 0
	v_mul_lo_u32 v16, s6, v16
	v_add3_u32 v15, v15, v16, v29
	v_lshlrev_b64 v[14:15], 4, v[14:15]
	v_add_co_u32_e64 v14, s[2:3], v40, v14
	v_addc_co_u32_e64 v15, s[2:3], v41, v15, s[2:3]
	global_load_dwordx4 v[50:53], v[14:15], off
	ds_read_b128 v[54:57], v9
	ds_read_b128 v[58:61], v9 offset:16
	s_waitcnt vmcnt(3) lgkmcnt(1)
	v_fma_f64 v[14:15], v[54:55], v[10:11], v[25:26]
	v_fma_f64 v[10:11], v[56:57], v[10:11], v[23:24]
	v_fma_f64 v[14:15], -v[56:57], v[12:13], v[14:15]
	v_fma_f64 v[10:11], v[54:55], v[12:13], v[10:11]
	s_waitcnt vmcnt(2) lgkmcnt(0)
	v_fma_f64 v[12:13], v[58:59], v[42:43], v[14:15]
	v_fma_f64 v[10:11], v[60:61], v[42:43], v[10:11]
	v_fma_f64 v[14:15], -v[60:61], v[44:45], v[12:13]
	v_fma_f64 v[29:30], v[58:59], v[44:45], v[10:11]
	ds_read_b128 v[10:13], v9 offset:48
	ds_read_b128 v[23:26], v9 offset:64
	v_add_u32_e32 v9, 0x60, v9
	s_waitcnt vmcnt(1) lgkmcnt(1)
	v_fma_f64 v[14:15], v[10:11], v[46:47], v[14:15]
	v_fma_f64 v[29:30], v[12:13], v[46:47], v[29:30]
	v_fma_f64 v[12:13], -v[12:13], v[48:49], v[14:15]
	v_fma_f64 v[10:11], v[10:11], v[48:49], v[29:30]
	s_waitcnt vmcnt(0) lgkmcnt(0)
	v_fma_f64 v[12:13], v[23:24], v[50:51], v[12:13]
	v_fma_f64 v[10:11], v[25:26], v[50:51], v[10:11]
	v_fma_f64 v[25:26], -v[25:26], v[52:53], v[12:13]
	v_fma_f64 v[23:24], v[23:24], v[52:53], v[10:11]
	s_cbranch_scc1 .LBB64_14
	s_branch .LBB64_9
.LBB64_15:                              ;   in Loop: Header=BB64_7 Depth=1
	s_or_b64 exec, exec, s[18:19]
.LBB64_16:                              ;   in Loop: Header=BB64_7 Depth=1
	s_or_b64 exec, exec, s[12:13]
	v_cmp_gt_i32_e32 vcc, s22, v21
	s_and_saveexec_b64 s[2:3], vcc
	s_cbranch_execz .LBB64_6
; %bb.17:                               ;   in Loop: Header=BB64_7 Depth=1
	s_and_saveexec_b64 s[12:13], s[4:5]
	s_xor_b64 s[12:13], exec, s[12:13]
	s_cbranch_execz .LBB64_22
; %bb.18:                               ;   in Loop: Header=BB64_7 Depth=1
	s_mov_b64 s[18:19], -1
	s_and_b64 vcc, exec, s[8:9]
	s_cbranch_vccz .LBB64_20
; %bb.19:                               ;   in Loop: Header=BB64_7 Depth=1
	v_lshlrev_b64 v[9:10], 4, v[21:22]
	v_mul_f64 v[15:16], v[23:24], -v[3:4]
	v_add_co_u32_e32 v13, vcc, v38, v9
	v_addc_co_u32_e32 v14, vcc, v39, v10, vcc
	global_load_dwordx4 v[9:12], v[13:14], off
	v_mul_f64 v[27:28], v[1:2], v[23:24]
	s_mov_b64 s[18:19], 0
	v_fma_f64 v[15:16], v[1:2], v[25:26], v[15:16]
	v_fma_f64 v[27:28], v[3:4], v[25:26], v[27:28]
	s_waitcnt vmcnt(0)
	v_fma_f64 v[15:16], v[5:6], v[9:10], v[15:16]
	v_fma_f64 v[27:28], v[7:8], v[9:10], v[27:28]
	v_fma_f64 v[9:10], -v[7:8], v[11:12], v[15:16]
	v_fma_f64 v[11:12], v[5:6], v[11:12], v[27:28]
	global_store_dwordx4 v[13:14], v[9:12], off
.LBB64_20:                              ;   in Loop: Header=BB64_7 Depth=1
	s_andn2_b64 vcc, exec, s[18:19]
	s_cbranch_vccnz .LBB64_22
; %bb.21:                               ;   in Loop: Header=BB64_7 Depth=1
	v_mul_lo_u32 v11, s27, v21
	v_mul_lo_u32 v12, s26, v22
	v_mad_u64_u32 v[9:10], s[18:19], s26, v21, 0
	v_mul_f64 v[15:16], v[23:24], -v[3:4]
	v_mul_f64 v[21:22], v[1:2], v[23:24]
	v_add3_u32 v10, v10, v12, v11
	v_lshlrev_b64 v[9:10], 4, v[9:10]
                                        ; implicit-def: $vgpr23_vgpr24
	v_add_co_u32_e32 v13, vcc, v34, v9
	v_addc_co_u32_e32 v14, vcc, v35, v10, vcc
	global_load_dwordx4 v[9:12], v[13:14], off
	v_fma_f64 v[15:16], v[1:2], v[25:26], v[15:16]
	v_fma_f64 v[21:22], v[3:4], v[25:26], v[21:22]
                                        ; implicit-def: $vgpr25_vgpr26
	s_waitcnt vmcnt(0)
	v_fma_f64 v[15:16], v[5:6], v[9:10], v[15:16]
	v_fma_f64 v[21:22], v[7:8], v[9:10], v[21:22]
	v_fma_f64 v[9:10], -v[7:8], v[11:12], v[15:16]
	v_fma_f64 v[11:12], v[5:6], v[11:12], v[21:22]
                                        ; implicit-def: $vgpr21
	global_store_dwordx4 v[13:14], v[9:12], off
.LBB64_22:                              ;   in Loop: Header=BB64_7 Depth=1
	s_andn2_saveexec_b64 s[12:13], s[12:13]
	s_cbranch_execz .LBB64_6
; %bb.23:                               ;   in Loop: Header=BB64_7 Depth=1
	v_mul_f64 v[9:10], v[23:24], -v[3:4]
	v_mul_f64 v[11:12], v[1:2], v[23:24]
	s_mov_b64 s[12:13], -1
	s_and_b64 vcc, exec, s[8:9]
	v_fma_f64 v[9:10], v[1:2], v[25:26], v[9:10]
	v_fma_f64 v[11:12], v[3:4], v[25:26], v[11:12]
	s_cbranch_vccz .LBB64_25
; %bb.24:                               ;   in Loop: Header=BB64_7 Depth=1
	v_lshlrev_b64 v[13:14], 4, v[21:22]
	s_mov_b64 s[12:13], 0
	v_add_co_u32_e32 v13, vcc, v38, v13
	v_addc_co_u32_e32 v14, vcc, v39, v14, vcc
	global_store_dwordx4 v[13:14], v[9:12], off
.LBB64_25:                              ;   in Loop: Header=BB64_7 Depth=1
	s_andn2_b64 vcc, exec, s[12:13]
	s_cbranch_vccnz .LBB64_6
; %bb.26:                               ;   in Loop: Header=BB64_7 Depth=1
	v_mul_lo_u32 v15, s27, v21
	v_mul_lo_u32 v16, s26, v22
	v_mad_u64_u32 v[13:14], s[12:13], s26, v21, 0
	v_add3_u32 v14, v14, v16, v15
	v_lshlrev_b64 v[13:14], 4, v[13:14]
	v_add_co_u32_e32 v13, vcc, v34, v13
	v_addc_co_u32_e32 v14, vcc, v35, v14, vcc
	global_store_dwordx4 v[13:14], v[9:12], off
	s_branch .LBB64_6
.LBB64_27:
	s_endpgm
	.section	.rodata,"a",@progbits
	.p2align	6, 0x0
	.amdhsa_kernel _ZN9rocsparseL29bsrmmnt_small_blockdim_kernelILj64ELj64ELj2Eli21rocsparse_complex_numIdES2_S2_S2_EEv20rocsparse_direction_T3_S4_llNS_24const_host_device_scalarIT7_EEPKT2_PKS4_PKT4_PKT5_llS7_PT6_ll16rocsparse_order_21rocsparse_index_base_b
		.amdhsa_group_segment_fixed_size 3328
		.amdhsa_private_segment_fixed_size 0
		.amdhsa_kernarg_size 408
		.amdhsa_user_sgpr_count 6
		.amdhsa_user_sgpr_private_segment_buffer 1
		.amdhsa_user_sgpr_dispatch_ptr 0
		.amdhsa_user_sgpr_queue_ptr 0
		.amdhsa_user_sgpr_kernarg_segment_ptr 1
		.amdhsa_user_sgpr_dispatch_id 0
		.amdhsa_user_sgpr_flat_scratch_init 0
		.amdhsa_user_sgpr_private_segment_size 0
		.amdhsa_uses_dynamic_stack 0
		.amdhsa_system_sgpr_private_segment_wavefront_offset 0
		.amdhsa_system_sgpr_workgroup_id_x 1
		.amdhsa_system_sgpr_workgroup_id_y 0
		.amdhsa_system_sgpr_workgroup_id_z 0
		.amdhsa_system_sgpr_workgroup_info 0
		.amdhsa_system_vgpr_workitem_id 0
		.amdhsa_next_free_vgpr 62
		.amdhsa_next_free_sgpr 98
		.amdhsa_reserve_vcc 1
		.amdhsa_reserve_flat_scratch 0
		.amdhsa_float_round_mode_32 0
		.amdhsa_float_round_mode_16_64 0
		.amdhsa_float_denorm_mode_32 3
		.amdhsa_float_denorm_mode_16_64 3
		.amdhsa_dx10_clamp 1
		.amdhsa_ieee_mode 1
		.amdhsa_fp16_overflow 0
		.amdhsa_exception_fp_ieee_invalid_op 0
		.amdhsa_exception_fp_denorm_src 0
		.amdhsa_exception_fp_ieee_div_zero 0
		.amdhsa_exception_fp_ieee_overflow 0
		.amdhsa_exception_fp_ieee_underflow 0
		.amdhsa_exception_fp_ieee_inexact 0
		.amdhsa_exception_int_div_zero 0
	.end_amdhsa_kernel
	.section	.text._ZN9rocsparseL29bsrmmnt_small_blockdim_kernelILj64ELj64ELj2Eli21rocsparse_complex_numIdES2_S2_S2_EEv20rocsparse_direction_T3_S4_llNS_24const_host_device_scalarIT7_EEPKT2_PKS4_PKT4_PKT5_llS7_PT6_ll16rocsparse_order_21rocsparse_index_base_b,"axG",@progbits,_ZN9rocsparseL29bsrmmnt_small_blockdim_kernelILj64ELj64ELj2Eli21rocsparse_complex_numIdES2_S2_S2_EEv20rocsparse_direction_T3_S4_llNS_24const_host_device_scalarIT7_EEPKT2_PKS4_PKT4_PKT5_llS7_PT6_ll16rocsparse_order_21rocsparse_index_base_b,comdat
.Lfunc_end64:
	.size	_ZN9rocsparseL29bsrmmnt_small_blockdim_kernelILj64ELj64ELj2Eli21rocsparse_complex_numIdES2_S2_S2_EEv20rocsparse_direction_T3_S4_llNS_24const_host_device_scalarIT7_EEPKT2_PKS4_PKT4_PKT5_llS7_PT6_ll16rocsparse_order_21rocsparse_index_base_b, .Lfunc_end64-_ZN9rocsparseL29bsrmmnt_small_blockdim_kernelILj64ELj64ELj2Eli21rocsparse_complex_numIdES2_S2_S2_EEv20rocsparse_direction_T3_S4_llNS_24const_host_device_scalarIT7_EEPKT2_PKS4_PKT4_PKT5_llS7_PT6_ll16rocsparse_order_21rocsparse_index_base_b
                                        ; -- End function
	.set _ZN9rocsparseL29bsrmmnt_small_blockdim_kernelILj64ELj64ELj2Eli21rocsparse_complex_numIdES2_S2_S2_EEv20rocsparse_direction_T3_S4_llNS_24const_host_device_scalarIT7_EEPKT2_PKS4_PKT4_PKT5_llS7_PT6_ll16rocsparse_order_21rocsparse_index_base_b.num_vgpr, 62
	.set _ZN9rocsparseL29bsrmmnt_small_blockdim_kernelILj64ELj64ELj2Eli21rocsparse_complex_numIdES2_S2_S2_EEv20rocsparse_direction_T3_S4_llNS_24const_host_device_scalarIT7_EEPKT2_PKS4_PKT4_PKT5_llS7_PT6_ll16rocsparse_order_21rocsparse_index_base_b.num_agpr, 0
	.set _ZN9rocsparseL29bsrmmnt_small_blockdim_kernelILj64ELj64ELj2Eli21rocsparse_complex_numIdES2_S2_S2_EEv20rocsparse_direction_T3_S4_llNS_24const_host_device_scalarIT7_EEPKT2_PKS4_PKT4_PKT5_llS7_PT6_ll16rocsparse_order_21rocsparse_index_base_b.numbered_sgpr, 28
	.set _ZN9rocsparseL29bsrmmnt_small_blockdim_kernelILj64ELj64ELj2Eli21rocsparse_complex_numIdES2_S2_S2_EEv20rocsparse_direction_T3_S4_llNS_24const_host_device_scalarIT7_EEPKT2_PKS4_PKT4_PKT5_llS7_PT6_ll16rocsparse_order_21rocsparse_index_base_b.num_named_barrier, 0
	.set _ZN9rocsparseL29bsrmmnt_small_blockdim_kernelILj64ELj64ELj2Eli21rocsparse_complex_numIdES2_S2_S2_EEv20rocsparse_direction_T3_S4_llNS_24const_host_device_scalarIT7_EEPKT2_PKS4_PKT4_PKT5_llS7_PT6_ll16rocsparse_order_21rocsparse_index_base_b.private_seg_size, 0
	.set _ZN9rocsparseL29bsrmmnt_small_blockdim_kernelILj64ELj64ELj2Eli21rocsparse_complex_numIdES2_S2_S2_EEv20rocsparse_direction_T3_S4_llNS_24const_host_device_scalarIT7_EEPKT2_PKS4_PKT4_PKT5_llS7_PT6_ll16rocsparse_order_21rocsparse_index_base_b.uses_vcc, 1
	.set _ZN9rocsparseL29bsrmmnt_small_blockdim_kernelILj64ELj64ELj2Eli21rocsparse_complex_numIdES2_S2_S2_EEv20rocsparse_direction_T3_S4_llNS_24const_host_device_scalarIT7_EEPKT2_PKS4_PKT4_PKT5_llS7_PT6_ll16rocsparse_order_21rocsparse_index_base_b.uses_flat_scratch, 0
	.set _ZN9rocsparseL29bsrmmnt_small_blockdim_kernelILj64ELj64ELj2Eli21rocsparse_complex_numIdES2_S2_S2_EEv20rocsparse_direction_T3_S4_llNS_24const_host_device_scalarIT7_EEPKT2_PKS4_PKT4_PKT5_llS7_PT6_ll16rocsparse_order_21rocsparse_index_base_b.has_dyn_sized_stack, 0
	.set _ZN9rocsparseL29bsrmmnt_small_blockdim_kernelILj64ELj64ELj2Eli21rocsparse_complex_numIdES2_S2_S2_EEv20rocsparse_direction_T3_S4_llNS_24const_host_device_scalarIT7_EEPKT2_PKS4_PKT4_PKT5_llS7_PT6_ll16rocsparse_order_21rocsparse_index_base_b.has_recursion, 0
	.set _ZN9rocsparseL29bsrmmnt_small_blockdim_kernelILj64ELj64ELj2Eli21rocsparse_complex_numIdES2_S2_S2_EEv20rocsparse_direction_T3_S4_llNS_24const_host_device_scalarIT7_EEPKT2_PKS4_PKT4_PKT5_llS7_PT6_ll16rocsparse_order_21rocsparse_index_base_b.has_indirect_call, 0
	.section	.AMDGPU.csdata,"",@progbits
; Kernel info:
; codeLenInByte = 1820
; TotalNumSgprs: 32
; NumVgprs: 62
; ScratchSize: 0
; MemoryBound: 0
; FloatMode: 240
; IeeeMode: 1
; LDSByteSize: 3328 bytes/workgroup (compile time only)
; SGPRBlocks: 12
; VGPRBlocks: 15
; NumSGPRsForWavesPerEU: 102
; NumVGPRsForWavesPerEU: 62
; Occupancy: 4
; WaveLimiterHint : 0
; COMPUTE_PGM_RSRC2:SCRATCH_EN: 0
; COMPUTE_PGM_RSRC2:USER_SGPR: 6
; COMPUTE_PGM_RSRC2:TRAP_HANDLER: 0
; COMPUTE_PGM_RSRC2:TGID_X_EN: 1
; COMPUTE_PGM_RSRC2:TGID_Y_EN: 0
; COMPUTE_PGM_RSRC2:TGID_Z_EN: 0
; COMPUTE_PGM_RSRC2:TIDIG_COMP_CNT: 0
	.section	.text._ZN9rocsparseL29bsrmmnt_small_blockdim_kernelILj64ELj8ELj2Ell21rocsparse_complex_numIdES2_S2_S2_EEv20rocsparse_direction_T3_S4_llNS_24const_host_device_scalarIT7_EEPKT2_PKS4_PKT4_PKT5_llS7_PT6_ll16rocsparse_order_21rocsparse_index_base_b,"axG",@progbits,_ZN9rocsparseL29bsrmmnt_small_blockdim_kernelILj64ELj8ELj2Ell21rocsparse_complex_numIdES2_S2_S2_EEv20rocsparse_direction_T3_S4_llNS_24const_host_device_scalarIT7_EEPKT2_PKS4_PKT4_PKT5_llS7_PT6_ll16rocsparse_order_21rocsparse_index_base_b,comdat
	.globl	_ZN9rocsparseL29bsrmmnt_small_blockdim_kernelILj64ELj8ELj2Ell21rocsparse_complex_numIdES2_S2_S2_EEv20rocsparse_direction_T3_S4_llNS_24const_host_device_scalarIT7_EEPKT2_PKS4_PKT4_PKT5_llS7_PT6_ll16rocsparse_order_21rocsparse_index_base_b ; -- Begin function _ZN9rocsparseL29bsrmmnt_small_blockdim_kernelILj64ELj8ELj2Ell21rocsparse_complex_numIdES2_S2_S2_EEv20rocsparse_direction_T3_S4_llNS_24const_host_device_scalarIT7_EEPKT2_PKS4_PKT4_PKT5_llS7_PT6_ll16rocsparse_order_21rocsparse_index_base_b
	.p2align	8
	.type	_ZN9rocsparseL29bsrmmnt_small_blockdim_kernelILj64ELj8ELj2Ell21rocsparse_complex_numIdES2_S2_S2_EEv20rocsparse_direction_T3_S4_llNS_24const_host_device_scalarIT7_EEPKT2_PKS4_PKT4_PKT5_llS7_PT6_ll16rocsparse_order_21rocsparse_index_base_b,@function
_ZN9rocsparseL29bsrmmnt_small_blockdim_kernelILj64ELj8ELj2Ell21rocsparse_complex_numIdES2_S2_S2_EEv20rocsparse_direction_T3_S4_llNS_24const_host_device_scalarIT7_EEPKT2_PKS4_PKT4_PKT5_llS7_PT6_ll16rocsparse_order_21rocsparse_index_base_b: ; @_ZN9rocsparseL29bsrmmnt_small_blockdim_kernelILj64ELj8ELj2Ell21rocsparse_complex_numIdES2_S2_S2_EEv20rocsparse_direction_T3_S4_llNS_24const_host_device_scalarIT7_EEPKT2_PKS4_PKT4_PKT5_llS7_PT6_ll16rocsparse_order_21rocsparse_index_base_b
; %bb.0:
	s_load_dwordx2 s[0:1], s[4:5], 0x28
	s_load_dwordx4 s[24:27], s[4:5], 0x90
	s_add_u32 s7, s4, 40
	s_addc_u32 s8, s5, 0
	s_add_u32 s9, s4, 0x68
	s_addc_u32 s10, s5, 0
	s_waitcnt lgkmcnt(0)
	s_bitcmp1_b32 s26, 0
	s_cselect_b32 s1, s8, s1
	s_cselect_b32 s0, s7, s0
	v_mov_b32_e32 v1, s0
	v_mov_b32_e32 v2, s1
	flat_load_dwordx4 v[1:4], v[1:2]
	s_load_dwordx2 s[2:3], s[4:5], 0x68
	s_waitcnt lgkmcnt(0)
	s_cselect_b32 s0, s10, s3
	s_cselect_b32 s1, s9, s2
	v_mov_b32_e32 v5, s1
	v_mov_b32_e32 v6, s0
	flat_load_dwordx4 v[5:8], v[5:6]
	s_waitcnt vmcnt(0)
	v_cmp_eq_f64_e32 vcc, 0, v[1:2]
	v_cmp_eq_f64_e64 s[0:1], 0, v[3:4]
	s_and_b64 s[8:9], vcc, s[0:1]
	s_mov_b64 s[0:1], -1
	s_and_saveexec_b64 s[2:3], s[8:9]
	s_cbranch_execz .LBB65_2
; %bb.1:
	s_waitcnt lgkmcnt(0)
	v_cmp_neq_f64_e32 vcc, 1.0, v[5:6]
	v_cmp_neq_f64_e64 s[0:1], 0, v[7:8]
	s_or_b64 s[0:1], vcc, s[0:1]
	s_orn2_b64 s[0:1], s[0:1], exec
.LBB65_2:
	s_or_b64 exec, exec, s[2:3]
	s_and_saveexec_b64 s[2:3], s[0:1]
	s_cbranch_execz .LBB65_27
; %bb.3:
	s_load_dword s0, s[4:5], 0xac
	s_load_dwordx4 s[16:19], s[4:5], 0x8
	v_mov_b32_e32 v10, 0
	s_waitcnt lgkmcnt(0)
	s_and_b32 s0, s0, 0xffff
	s_mul_i32 s6, s6, s0
	v_add_u32_e32 v11, s6, v0
	v_lshrrev_b32_e32 v9, 4, v11
	v_cmp_gt_i64_e32 vcc, s[16:17], v[9:10]
	s_and_b64 exec, exec, vcc
	s_cbranch_execz .LBB65_27
; %bb.4:
	v_cmp_lt_i64_e64 s[0:1], s[18:19], 1
	s_and_b64 vcc, exec, s[0:1]
	s_cbranch_vccnz .LBB65_27
; %bb.5:
	s_load_dwordx8 s[8:15], s[4:5], 0x38
	v_lshlrev_b32_e32 v9, 3, v9
	v_cmp_neq_f64_e32 vcc, 0, v[5:6]
	v_cmp_neq_f64_e64 s[0:1], 0, v[7:8]
	v_and_b32_e32 v33, 7, v0
	s_waitcnt lgkmcnt(0)
	global_load_dwordx4 v[12:15], v9, s[8:9]
	s_load_dword s16, s[4:5], 0x0
	s_load_dwordx4 s[20:23], s[4:5], 0x78
	s_load_dwordx2 s[6:7], s[4:5], 0x58
	v_lshrrev_b32_e32 v9, 3, v11
	v_lshrrev_b32_e32 v16, 3, v0
	v_lshlrev_b32_e32 v0, 1, v11
	v_mov_b32_e32 v11, 0xc00
	v_mov_b32_e32 v10, 0
	v_and_b32_e32 v18, 16, v0
	v_lshl_or_b32 v0, v16, 6, v11
	v_mul_u32_u24_e32 v34, 0x180, v16
	s_waitcnt lgkmcnt(0)
	v_mad_u64_u32 v[16:17], s[2:3], v9, s22, 0
	v_lshlrev_b64 v[10:11], 4, v[9:10]
	v_mov_b32_e32 v19, s13
	v_add_co_u32_e64 v23, s[2:3], s12, v18
	v_addc_co_u32_e64 v19, s[2:3], 0, v19, s[2:3]
	v_mov_b32_e32 v22, s21
	v_add_co_u32_e64 v36, s[2:3], s20, v10
	v_addc_co_u32_e64 v37, s[2:3], v22, v11, s[2:3]
	v_add_co_u32_e64 v11, s[2:3], v23, v18
	v_mov_b32_e32 v10, v17
	s_or_b64 s[8:9], vcc, s[0:1]
	v_mad_u64_u32 v[9:10], s[0:1], v9, s23, v[10:11]
	s_cmp_lg_u32 s24, 1
	s_cselect_b64 s[12:13], -1, 0
	v_mov_b32_e32 v17, v9
	s_cmp_eq_u32 s16, 0
	v_lshlrev_b64 v[9:10], 4, v[16:17]
	v_addc_co_u32_e64 v18, s[2:3], 0, v19, s[2:3]
	s_cselect_b64 vcc, -1, 0
	v_mov_b32_e32 v20, s21
	v_cndmask_b32_e32 v38, v19, v18, vcc
	v_cndmask_b32_e32 v39, v23, v11, vcc
	s_and_b64 s[0:1], vcc, exec
	v_add_co_u32_e32 v40, vcc, s20, v9
	v_addc_co_u32_e32 v41, vcc, v20, v10, vcc
	v_mul_u32_u24_e32 v21, 48, v33
	s_mov_b32 s28, s25
	s_mov_b64 s[4:5], 0
	v_lshl_or_b32 v35, v33, 3, v0
	s_cselect_b32 s29, 16, 32
	s_cselect_b32 s30, 24, 40
	v_add_u32_e32 v42, v34, v21
	s_lshl_b64 s[16:17], s[6:7], 4
	s_waitcnt vmcnt(0)
	v_subrev_co_u32_e32 v17, vcc, s25, v12
	v_subbrev_co_u32_e32 v18, vcc, 0, v13, vcc
	v_subrev_co_u32_e32 v19, vcc, s25, v14
	v_cmp_lt_i64_e64 s[0:1], v[12:13], v[14:15]
	v_subbrev_co_u32_e32 v20, vcc, 0, v15, vcc
	s_branch .LBB65_7
.LBB65_6:                               ;   in Loop: Header=BB65_7 Depth=1
	s_or_b64 exec, exec, s[2:3]
	s_add_u32 s4, s4, 8
	v_mov_b32_e32 v9, s18
	s_addc_u32 s5, s5, 0
	v_mov_b32_e32 v10, s19
	v_cmp_lt_i64_e32 vcc, s[4:5], v[9:10]
	s_cbranch_vccz .LBB65_27
.LBB65_7:                               ; =>This Loop Header: Depth=1
                                        ;     Child Loop BB65_10 Depth 2
                                        ;       Child Loop BB65_14 Depth 3
	v_mov_b32_e32 v23, 0
	v_mov_b32_e32 v25, 0
	v_mov_b32_e32 v22, s5
	v_mov_b32_e32 v24, 0
	v_mov_b32_e32 v26, 0
	v_or_b32_e32 v21, s4, v33
	s_and_saveexec_b64 s[20:21], s[0:1]
	s_cbranch_execz .LBB65_16
; %bb.8:                                ;   in Loop: Header=BB65_7 Depth=1
	v_lshlrev_b64 v[9:10], 4, v[21:22]
	v_cmp_gt_i64_e32 vcc, s[18:19], v[21:22]
	v_mov_b32_e32 v11, s15
	v_add_co_u32_e64 v43, s[2:3], s14, v9
	v_mov_b32_e32 v23, 0
	v_mov_b32_e32 v25, 0
	;; [unrolled: 1-line block ×3, first 2 shown]
	v_addc_co_u32_e64 v44, s[2:3], v11, v10, s[2:3]
	v_mov_b32_e32 v24, 0
	s_mov_b64 s[24:25], 0
	v_mov_b32_e32 v26, 0
	v_mov_b32_e32 v27, v17
	s_branch .LBB65_10
.LBB65_9:                               ;   in Loop: Header=BB65_10 Depth=2
	s_or_b64 exec, exec, s[26:27]
	v_add_co_u32_e64 v27, s[2:3], 8, v27
	v_addc_co_u32_e64 v28, s[2:3], 0, v28, s[2:3]
	v_cmp_ge_i64_e64 s[2:3], v[27:28], v[19:20]
	s_or_b64 s[24:25], s[2:3], s[24:25]
	s_andn2_b64 exec, exec, s[24:25]
	s_cbranch_execz .LBB65_15
.LBB65_10:                              ;   Parent Loop BB65_7 Depth=1
                                        ; =>  This Loop Header: Depth=2
                                        ;       Child Loop BB65_14 Depth 3
	v_add_co_u32_e64 v29, s[2:3], v27, v33
	v_addc_co_u32_e64 v30, s[2:3], 0, v28, s[2:3]
	v_cmp_lt_i64_e64 s[2:3], v[29:30], v[19:20]
	v_mov_b32_e32 v31, 0
	v_mov_b32_e32 v13, 0
	;; [unrolled: 1-line block ×10, first 2 shown]
	s_and_saveexec_b64 s[26:27], s[2:3]
	s_cbranch_execz .LBB65_12
; %bb.11:                               ;   in Loop: Header=BB65_10 Depth=2
	v_lshlrev_b64 v[9:10], 3, v[29:30]
	v_mov_b32_e32 v11, s11
	v_add_co_u32_e64 v9, s[2:3], s10, v9
	v_addc_co_u32_e64 v10, s[2:3], v11, v10, s[2:3]
	global_load_dwordx2 v[31:32], v[9:10], off
	v_lshlrev_b64 v[9:10], 6, v[29:30]
	v_add_co_u32_e64 v29, s[2:3], v39, v9
	v_addc_co_u32_e64 v30, s[2:3], v38, v10, s[2:3]
	v_add_co_u32_e64 v45, s[2:3], s29, v29
	v_addc_co_u32_e64 v46, s[2:3], 0, v30, s[2:3]
	;; [unrolled: 2-line block ×3, first 2 shown]
	global_load_dwordx4 v[13:16], v[29:30], off
	global_load_dwordx2 v[9:10], v[45:46], off
	global_load_dwordx2 v[11:12], v[47:48], off
	s_waitcnt vmcnt(3)
	v_subrev_co_u32_e64 v29, s[2:3], s28, v31
	v_subbrev_co_u32_e64 v30, s[2:3], 0, v32, s[2:3]
	v_lshlrev_b64 v[31:32], 1, v[29:30]
.LBB65_12:                              ;   in Loop: Header=BB65_10 Depth=2
	s_or_b64 exec, exec, s[26:27]
	ds_write_b64 v35, v[31:32]
	s_waitcnt vmcnt(2)
	ds_write_b128 v42, v[13:16]
	s_waitcnt vmcnt(0)
	ds_write_b128 v42, v[9:12] offset:16
	s_waitcnt lgkmcnt(0)
	; wave barrier
	s_and_saveexec_b64 s[26:27], vcc
	s_cbranch_execz .LBB65_9
; %bb.13:                               ;   in Loop: Header=BB65_10 Depth=2
	s_mov_b32 s31, 0
	v_mov_b32_e32 v9, v34
.LBB65_14:                              ;   Parent Loop BB65_7 Depth=1
                                        ;     Parent Loop BB65_10 Depth=2
                                        ; =>    This Inner Loop Header: Depth=3
	v_add_u32_e32 v10, s31, v0
	ds_read_b128 v[10:13], v10
	v_mov_b32_e32 v16, s17
	s_add_i32 s31, s31, 16
	s_cmp_lg_u32 s31, 64
	s_waitcnt lgkmcnt(0)
	v_mul_lo_u32 v14, v11, s6
	v_mul_lo_u32 v15, v10, s7
	v_mad_u64_u32 v[10:11], s[2:3], v10, s6, 0
	v_mul_lo_u32 v13, v13, s6
	v_add3_u32 v11, v11, v15, v14
	v_lshlrev_b64 v[10:11], 4, v[10:11]
	v_mul_lo_u32 v14, v12, s7
	v_add_co_u32_e64 v10, s[2:3], v43, v10
	v_addc_co_u32_e64 v11, s[2:3], v44, v11, s[2:3]
	global_load_dwordx4 v[29:32], v[10:11], off
	v_add_co_u32_e64 v10, s[2:3], s16, v10
	v_addc_co_u32_e64 v11, s[2:3], v11, v16, s[2:3]
	global_load_dwordx4 v[45:48], v[10:11], off
	v_mad_u64_u32 v[10:11], s[2:3], v12, s6, 0
	v_add3_u32 v11, v11, v14, v13
	v_lshlrev_b64 v[10:11], 4, v[10:11]
	v_add_co_u32_e64 v14, s[2:3], v43, v10
	v_addc_co_u32_e64 v15, s[2:3], v44, v11, s[2:3]
	global_load_dwordx4 v[10:13], v[14:15], off
	v_add_co_u32_e64 v14, s[2:3], s16, v14
	v_addc_co_u32_e64 v15, s[2:3], v15, v16, s[2:3]
	global_load_dwordx4 v[49:52], v[14:15], off
	ds_read_b128 v[53:56], v9
	ds_read_b128 v[57:60], v9 offset:16
	s_waitcnt vmcnt(3) lgkmcnt(1)
	v_fma_f64 v[14:15], v[53:54], v[29:30], v[25:26]
	v_fma_f64 v[23:24], v[55:56], v[29:30], v[23:24]
	v_fma_f64 v[14:15], -v[55:56], v[31:32], v[14:15]
	v_fma_f64 v[23:24], v[53:54], v[31:32], v[23:24]
	s_waitcnt vmcnt(2) lgkmcnt(0)
	v_fma_f64 v[14:15], v[57:58], v[45:46], v[14:15]
	v_fma_f64 v[23:24], v[59:60], v[45:46], v[23:24]
	v_fma_f64 v[14:15], -v[59:60], v[47:48], v[14:15]
	v_fma_f64 v[45:46], v[57:58], v[47:48], v[23:24]
	ds_read_b128 v[23:26], v9 offset:48
	ds_read_b128 v[29:32], v9 offset:64
	v_add_u32_e32 v9, 0x60, v9
	s_waitcnt vmcnt(1) lgkmcnt(1)
	v_fma_f64 v[14:15], v[23:24], v[10:11], v[14:15]
	v_fma_f64 v[10:11], v[25:26], v[10:11], v[45:46]
	v_fma_f64 v[14:15], -v[25:26], v[12:13], v[14:15]
	v_fma_f64 v[10:11], v[23:24], v[12:13], v[10:11]
	s_waitcnt vmcnt(0) lgkmcnt(0)
	v_fma_f64 v[12:13], v[29:30], v[49:50], v[14:15]
	v_fma_f64 v[10:11], v[31:32], v[49:50], v[10:11]
	v_fma_f64 v[25:26], -v[31:32], v[51:52], v[12:13]
	v_fma_f64 v[23:24], v[29:30], v[51:52], v[10:11]
	s_cbranch_scc1 .LBB65_14
	s_branch .LBB65_9
.LBB65_15:                              ;   in Loop: Header=BB65_7 Depth=1
	s_or_b64 exec, exec, s[24:25]
.LBB65_16:                              ;   in Loop: Header=BB65_7 Depth=1
	s_or_b64 exec, exec, s[20:21]
	v_cmp_gt_i64_e32 vcc, s[18:19], v[21:22]
	s_and_saveexec_b64 s[2:3], vcc
	s_cbranch_execz .LBB65_6
; %bb.17:                               ;   in Loop: Header=BB65_7 Depth=1
	s_and_saveexec_b64 s[20:21], s[8:9]
	s_xor_b64 s[20:21], exec, s[20:21]
	s_cbranch_execz .LBB65_22
; %bb.18:                               ;   in Loop: Header=BB65_7 Depth=1
	s_mov_b64 s[24:25], -1
	s_and_b64 vcc, exec, s[12:13]
	s_cbranch_vccz .LBB65_20
; %bb.19:                               ;   in Loop: Header=BB65_7 Depth=1
	v_lshlrev_b64 v[9:10], 4, v[21:22]
	v_mul_f64 v[15:16], v[23:24], -v[3:4]
	v_add_co_u32_e32 v13, vcc, v40, v9
	v_addc_co_u32_e32 v14, vcc, v41, v10, vcc
	global_load_dwordx4 v[9:12], v[13:14], off
	v_mul_f64 v[27:28], v[1:2], v[23:24]
	s_mov_b64 s[24:25], 0
	v_fma_f64 v[15:16], v[1:2], v[25:26], v[15:16]
	v_fma_f64 v[27:28], v[3:4], v[25:26], v[27:28]
	s_waitcnt vmcnt(0)
	v_fma_f64 v[15:16], v[5:6], v[9:10], v[15:16]
	v_fma_f64 v[27:28], v[7:8], v[9:10], v[27:28]
	v_fma_f64 v[9:10], -v[7:8], v[11:12], v[15:16]
	v_fma_f64 v[11:12], v[5:6], v[11:12], v[27:28]
	global_store_dwordx4 v[13:14], v[9:12], off
.LBB65_20:                              ;   in Loop: Header=BB65_7 Depth=1
	s_andn2_b64 vcc, exec, s[24:25]
	s_cbranch_vccnz .LBB65_22
; %bb.21:                               ;   in Loop: Header=BB65_7 Depth=1
	v_mul_lo_u32 v11, v22, s22
	v_mul_lo_u32 v12, v21, s23
	v_mad_u64_u32 v[9:10], s[24:25], v21, s22, 0
	v_mul_f64 v[15:16], v[23:24], -v[3:4]
	v_mul_f64 v[21:22], v[1:2], v[23:24]
	v_add3_u32 v10, v10, v12, v11
	v_lshlrev_b64 v[9:10], 4, v[9:10]
                                        ; implicit-def: $vgpr23_vgpr24
	v_add_co_u32_e32 v13, vcc, v36, v9
	v_addc_co_u32_e32 v14, vcc, v37, v10, vcc
	global_load_dwordx4 v[9:12], v[13:14], off
	v_fma_f64 v[15:16], v[1:2], v[25:26], v[15:16]
	v_fma_f64 v[21:22], v[3:4], v[25:26], v[21:22]
                                        ; implicit-def: $vgpr25_vgpr26
	s_waitcnt vmcnt(0)
	v_fma_f64 v[15:16], v[5:6], v[9:10], v[15:16]
	v_fma_f64 v[21:22], v[7:8], v[9:10], v[21:22]
	v_fma_f64 v[9:10], -v[7:8], v[11:12], v[15:16]
	v_fma_f64 v[11:12], v[5:6], v[11:12], v[21:22]
                                        ; implicit-def: $vgpr21_vgpr22
	global_store_dwordx4 v[13:14], v[9:12], off
.LBB65_22:                              ;   in Loop: Header=BB65_7 Depth=1
	s_andn2_saveexec_b64 s[20:21], s[20:21]
	s_cbranch_execz .LBB65_6
; %bb.23:                               ;   in Loop: Header=BB65_7 Depth=1
	v_mul_f64 v[9:10], v[23:24], -v[3:4]
	v_mul_f64 v[11:12], v[1:2], v[23:24]
	s_mov_b64 s[20:21], -1
	s_and_b64 vcc, exec, s[12:13]
	v_fma_f64 v[9:10], v[1:2], v[25:26], v[9:10]
	v_fma_f64 v[11:12], v[3:4], v[25:26], v[11:12]
	s_cbranch_vccz .LBB65_25
; %bb.24:                               ;   in Loop: Header=BB65_7 Depth=1
	v_lshlrev_b64 v[13:14], 4, v[21:22]
	s_mov_b64 s[20:21], 0
	v_add_co_u32_e32 v13, vcc, v40, v13
	v_addc_co_u32_e32 v14, vcc, v41, v14, vcc
	global_store_dwordx4 v[13:14], v[9:12], off
.LBB65_25:                              ;   in Loop: Header=BB65_7 Depth=1
	s_andn2_b64 vcc, exec, s[20:21]
	s_cbranch_vccnz .LBB65_6
; %bb.26:                               ;   in Loop: Header=BB65_7 Depth=1
	v_mul_lo_u32 v15, v22, s22
	v_mul_lo_u32 v16, v21, s23
	v_mad_u64_u32 v[13:14], s[20:21], v21, s22, 0
	v_add3_u32 v14, v14, v16, v15
	v_lshlrev_b64 v[13:14], 4, v[13:14]
	v_add_co_u32_e32 v13, vcc, v36, v13
	v_addc_co_u32_e32 v14, vcc, v37, v14, vcc
	global_store_dwordx4 v[13:14], v[9:12], off
	s_branch .LBB65_6
.LBB65_27:
	s_endpgm
	.section	.rodata,"a",@progbits
	.p2align	6, 0x0
	.amdhsa_kernel _ZN9rocsparseL29bsrmmnt_small_blockdim_kernelILj64ELj8ELj2Ell21rocsparse_complex_numIdES2_S2_S2_EEv20rocsparse_direction_T3_S4_llNS_24const_host_device_scalarIT7_EEPKT2_PKS4_PKT4_PKT5_llS7_PT6_ll16rocsparse_order_21rocsparse_index_base_b
		.amdhsa_group_segment_fixed_size 3584
		.amdhsa_private_segment_fixed_size 0
		.amdhsa_kernarg_size 416
		.amdhsa_user_sgpr_count 6
		.amdhsa_user_sgpr_private_segment_buffer 1
		.amdhsa_user_sgpr_dispatch_ptr 0
		.amdhsa_user_sgpr_queue_ptr 0
		.amdhsa_user_sgpr_kernarg_segment_ptr 1
		.amdhsa_user_sgpr_dispatch_id 0
		.amdhsa_user_sgpr_flat_scratch_init 0
		.amdhsa_user_sgpr_private_segment_size 0
		.amdhsa_uses_dynamic_stack 0
		.amdhsa_system_sgpr_private_segment_wavefront_offset 0
		.amdhsa_system_sgpr_workgroup_id_x 1
		.amdhsa_system_sgpr_workgroup_id_y 0
		.amdhsa_system_sgpr_workgroup_id_z 0
		.amdhsa_system_sgpr_workgroup_info 0
		.amdhsa_system_vgpr_workitem_id 0
		.amdhsa_next_free_vgpr 61
		.amdhsa_next_free_sgpr 98
		.amdhsa_reserve_vcc 1
		.amdhsa_reserve_flat_scratch 0
		.amdhsa_float_round_mode_32 0
		.amdhsa_float_round_mode_16_64 0
		.amdhsa_float_denorm_mode_32 3
		.amdhsa_float_denorm_mode_16_64 3
		.amdhsa_dx10_clamp 1
		.amdhsa_ieee_mode 1
		.amdhsa_fp16_overflow 0
		.amdhsa_exception_fp_ieee_invalid_op 0
		.amdhsa_exception_fp_denorm_src 0
		.amdhsa_exception_fp_ieee_div_zero 0
		.amdhsa_exception_fp_ieee_overflow 0
		.amdhsa_exception_fp_ieee_underflow 0
		.amdhsa_exception_fp_ieee_inexact 0
		.amdhsa_exception_int_div_zero 0
	.end_amdhsa_kernel
	.section	.text._ZN9rocsparseL29bsrmmnt_small_blockdim_kernelILj64ELj8ELj2Ell21rocsparse_complex_numIdES2_S2_S2_EEv20rocsparse_direction_T3_S4_llNS_24const_host_device_scalarIT7_EEPKT2_PKS4_PKT4_PKT5_llS7_PT6_ll16rocsparse_order_21rocsparse_index_base_b,"axG",@progbits,_ZN9rocsparseL29bsrmmnt_small_blockdim_kernelILj64ELj8ELj2Ell21rocsparse_complex_numIdES2_S2_S2_EEv20rocsparse_direction_T3_S4_llNS_24const_host_device_scalarIT7_EEPKT2_PKS4_PKT4_PKT5_llS7_PT6_ll16rocsparse_order_21rocsparse_index_base_b,comdat
.Lfunc_end65:
	.size	_ZN9rocsparseL29bsrmmnt_small_blockdim_kernelILj64ELj8ELj2Ell21rocsparse_complex_numIdES2_S2_S2_EEv20rocsparse_direction_T3_S4_llNS_24const_host_device_scalarIT7_EEPKT2_PKS4_PKT4_PKT5_llS7_PT6_ll16rocsparse_order_21rocsparse_index_base_b, .Lfunc_end65-_ZN9rocsparseL29bsrmmnt_small_blockdim_kernelILj64ELj8ELj2Ell21rocsparse_complex_numIdES2_S2_S2_EEv20rocsparse_direction_T3_S4_llNS_24const_host_device_scalarIT7_EEPKT2_PKS4_PKT4_PKT5_llS7_PT6_ll16rocsparse_order_21rocsparse_index_base_b
                                        ; -- End function
	.set _ZN9rocsparseL29bsrmmnt_small_blockdim_kernelILj64ELj8ELj2Ell21rocsparse_complex_numIdES2_S2_S2_EEv20rocsparse_direction_T3_S4_llNS_24const_host_device_scalarIT7_EEPKT2_PKS4_PKT4_PKT5_llS7_PT6_ll16rocsparse_order_21rocsparse_index_base_b.num_vgpr, 61
	.set _ZN9rocsparseL29bsrmmnt_small_blockdim_kernelILj64ELj8ELj2Ell21rocsparse_complex_numIdES2_S2_S2_EEv20rocsparse_direction_T3_S4_llNS_24const_host_device_scalarIT7_EEPKT2_PKS4_PKT4_PKT5_llS7_PT6_ll16rocsparse_order_21rocsparse_index_base_b.num_agpr, 0
	.set _ZN9rocsparseL29bsrmmnt_small_blockdim_kernelILj64ELj8ELj2Ell21rocsparse_complex_numIdES2_S2_S2_EEv20rocsparse_direction_T3_S4_llNS_24const_host_device_scalarIT7_EEPKT2_PKS4_PKT4_PKT5_llS7_PT6_ll16rocsparse_order_21rocsparse_index_base_b.numbered_sgpr, 32
	.set _ZN9rocsparseL29bsrmmnt_small_blockdim_kernelILj64ELj8ELj2Ell21rocsparse_complex_numIdES2_S2_S2_EEv20rocsparse_direction_T3_S4_llNS_24const_host_device_scalarIT7_EEPKT2_PKS4_PKT4_PKT5_llS7_PT6_ll16rocsparse_order_21rocsparse_index_base_b.num_named_barrier, 0
	.set _ZN9rocsparseL29bsrmmnt_small_blockdim_kernelILj64ELj8ELj2Ell21rocsparse_complex_numIdES2_S2_S2_EEv20rocsparse_direction_T3_S4_llNS_24const_host_device_scalarIT7_EEPKT2_PKS4_PKT4_PKT5_llS7_PT6_ll16rocsparse_order_21rocsparse_index_base_b.private_seg_size, 0
	.set _ZN9rocsparseL29bsrmmnt_small_blockdim_kernelILj64ELj8ELj2Ell21rocsparse_complex_numIdES2_S2_S2_EEv20rocsparse_direction_T3_S4_llNS_24const_host_device_scalarIT7_EEPKT2_PKS4_PKT4_PKT5_llS7_PT6_ll16rocsparse_order_21rocsparse_index_base_b.uses_vcc, 1
	.set _ZN9rocsparseL29bsrmmnt_small_blockdim_kernelILj64ELj8ELj2Ell21rocsparse_complex_numIdES2_S2_S2_EEv20rocsparse_direction_T3_S4_llNS_24const_host_device_scalarIT7_EEPKT2_PKS4_PKT4_PKT5_llS7_PT6_ll16rocsparse_order_21rocsparse_index_base_b.uses_flat_scratch, 0
	.set _ZN9rocsparseL29bsrmmnt_small_blockdim_kernelILj64ELj8ELj2Ell21rocsparse_complex_numIdES2_S2_S2_EEv20rocsparse_direction_T3_S4_llNS_24const_host_device_scalarIT7_EEPKT2_PKS4_PKT4_PKT5_llS7_PT6_ll16rocsparse_order_21rocsparse_index_base_b.has_dyn_sized_stack, 0
	.set _ZN9rocsparseL29bsrmmnt_small_blockdim_kernelILj64ELj8ELj2Ell21rocsparse_complex_numIdES2_S2_S2_EEv20rocsparse_direction_T3_S4_llNS_24const_host_device_scalarIT7_EEPKT2_PKS4_PKT4_PKT5_llS7_PT6_ll16rocsparse_order_21rocsparse_index_base_b.has_recursion, 0
	.set _ZN9rocsparseL29bsrmmnt_small_blockdim_kernelILj64ELj8ELj2Ell21rocsparse_complex_numIdES2_S2_S2_EEv20rocsparse_direction_T3_S4_llNS_24const_host_device_scalarIT7_EEPKT2_PKS4_PKT4_PKT5_llS7_PT6_ll16rocsparse_order_21rocsparse_index_base_b.has_indirect_call, 0
	.section	.AMDGPU.csdata,"",@progbits
; Kernel info:
; codeLenInByte = 1836
; TotalNumSgprs: 36
; NumVgprs: 61
; ScratchSize: 0
; MemoryBound: 0
; FloatMode: 240
; IeeeMode: 1
; LDSByteSize: 3584 bytes/workgroup (compile time only)
; SGPRBlocks: 12
; VGPRBlocks: 15
; NumSGPRsForWavesPerEU: 102
; NumVGPRsForWavesPerEU: 61
; Occupancy: 4
; WaveLimiterHint : 1
; COMPUTE_PGM_RSRC2:SCRATCH_EN: 0
; COMPUTE_PGM_RSRC2:USER_SGPR: 6
; COMPUTE_PGM_RSRC2:TRAP_HANDLER: 0
; COMPUTE_PGM_RSRC2:TGID_X_EN: 1
; COMPUTE_PGM_RSRC2:TGID_Y_EN: 0
; COMPUTE_PGM_RSRC2:TGID_Z_EN: 0
; COMPUTE_PGM_RSRC2:TIDIG_COMP_CNT: 0
	.section	.text._ZN9rocsparseL29bsrmmnt_small_blockdim_kernelILj64ELj16ELj2Ell21rocsparse_complex_numIdES2_S2_S2_EEv20rocsparse_direction_T3_S4_llNS_24const_host_device_scalarIT7_EEPKT2_PKS4_PKT4_PKT5_llS7_PT6_ll16rocsparse_order_21rocsparse_index_base_b,"axG",@progbits,_ZN9rocsparseL29bsrmmnt_small_blockdim_kernelILj64ELj16ELj2Ell21rocsparse_complex_numIdES2_S2_S2_EEv20rocsparse_direction_T3_S4_llNS_24const_host_device_scalarIT7_EEPKT2_PKS4_PKT4_PKT5_llS7_PT6_ll16rocsparse_order_21rocsparse_index_base_b,comdat
	.globl	_ZN9rocsparseL29bsrmmnt_small_blockdim_kernelILj64ELj16ELj2Ell21rocsparse_complex_numIdES2_S2_S2_EEv20rocsparse_direction_T3_S4_llNS_24const_host_device_scalarIT7_EEPKT2_PKS4_PKT4_PKT5_llS7_PT6_ll16rocsparse_order_21rocsparse_index_base_b ; -- Begin function _ZN9rocsparseL29bsrmmnt_small_blockdim_kernelILj64ELj16ELj2Ell21rocsparse_complex_numIdES2_S2_S2_EEv20rocsparse_direction_T3_S4_llNS_24const_host_device_scalarIT7_EEPKT2_PKS4_PKT4_PKT5_llS7_PT6_ll16rocsparse_order_21rocsparse_index_base_b
	.p2align	8
	.type	_ZN9rocsparseL29bsrmmnt_small_blockdim_kernelILj64ELj16ELj2Ell21rocsparse_complex_numIdES2_S2_S2_EEv20rocsparse_direction_T3_S4_llNS_24const_host_device_scalarIT7_EEPKT2_PKS4_PKT4_PKT5_llS7_PT6_ll16rocsparse_order_21rocsparse_index_base_b,@function
_ZN9rocsparseL29bsrmmnt_small_blockdim_kernelILj64ELj16ELj2Ell21rocsparse_complex_numIdES2_S2_S2_EEv20rocsparse_direction_T3_S4_llNS_24const_host_device_scalarIT7_EEPKT2_PKS4_PKT4_PKT5_llS7_PT6_ll16rocsparse_order_21rocsparse_index_base_b: ; @_ZN9rocsparseL29bsrmmnt_small_blockdim_kernelILj64ELj16ELj2Ell21rocsparse_complex_numIdES2_S2_S2_EEv20rocsparse_direction_T3_S4_llNS_24const_host_device_scalarIT7_EEPKT2_PKS4_PKT4_PKT5_llS7_PT6_ll16rocsparse_order_21rocsparse_index_base_b
; %bb.0:
	s_load_dwordx2 s[0:1], s[4:5], 0x28
	s_load_dwordx4 s[24:27], s[4:5], 0x90
	s_add_u32 s7, s4, 40
	s_addc_u32 s8, s5, 0
	s_add_u32 s9, s4, 0x68
	s_addc_u32 s10, s5, 0
	s_waitcnt lgkmcnt(0)
	s_bitcmp1_b32 s26, 0
	s_cselect_b32 s1, s8, s1
	s_cselect_b32 s0, s7, s0
	v_mov_b32_e32 v1, s0
	v_mov_b32_e32 v2, s1
	flat_load_dwordx4 v[1:4], v[1:2]
	s_load_dwordx2 s[2:3], s[4:5], 0x68
	s_waitcnt lgkmcnt(0)
	s_cselect_b32 s0, s10, s3
	s_cselect_b32 s1, s9, s2
	v_mov_b32_e32 v5, s1
	v_mov_b32_e32 v6, s0
	flat_load_dwordx4 v[5:8], v[5:6]
	s_waitcnt vmcnt(0)
	v_cmp_eq_f64_e32 vcc, 0, v[1:2]
	v_cmp_eq_f64_e64 s[0:1], 0, v[3:4]
	s_and_b64 s[8:9], vcc, s[0:1]
	s_mov_b64 s[0:1], -1
	s_and_saveexec_b64 s[2:3], s[8:9]
	s_cbranch_execz .LBB66_2
; %bb.1:
	s_waitcnt lgkmcnt(0)
	v_cmp_neq_f64_e32 vcc, 1.0, v[5:6]
	v_cmp_neq_f64_e64 s[0:1], 0, v[7:8]
	s_or_b64 s[0:1], vcc, s[0:1]
	s_orn2_b64 s[0:1], s[0:1], exec
.LBB66_2:
	s_or_b64 exec, exec, s[2:3]
	s_and_saveexec_b64 s[2:3], s[0:1]
	s_cbranch_execz .LBB66_27
; %bb.3:
	s_load_dword s0, s[4:5], 0xac
	s_load_dwordx4 s[16:19], s[4:5], 0x8
	v_mov_b32_e32 v10, 0
	s_waitcnt lgkmcnt(0)
	s_and_b32 s0, s0, 0xffff
	s_mul_i32 s6, s6, s0
	v_add_u32_e32 v11, s6, v0
	v_lshrrev_b32_e32 v9, 5, v11
	v_cmp_gt_i64_e32 vcc, s[16:17], v[9:10]
	s_and_b64 exec, exec, vcc
	s_cbranch_execz .LBB66_27
; %bb.4:
	v_cmp_lt_i64_e64 s[0:1], s[18:19], 1
	s_and_b64 vcc, exec, s[0:1]
	s_cbranch_vccnz .LBB66_27
; %bb.5:
	s_load_dwordx8 s[8:15], s[4:5], 0x38
	v_lshlrev_b32_e32 v9, 3, v9
	v_cmp_neq_f64_e32 vcc, 0, v[5:6]
	v_cmp_neq_f64_e64 s[0:1], 0, v[7:8]
	v_lshrrev_b32_e32 v16, 4, v11
	s_waitcnt lgkmcnt(0)
	global_load_dwordx4 v[12:15], v9, s[8:9]
	s_load_dword s16, s[4:5], 0x0
	s_load_dwordx4 s[20:23], s[4:5], 0x78
	s_load_dwordx2 s[6:7], s[4:5], 0x58
	v_and_b32_e32 v33, 15, v0
	v_lshrrev_b32_e32 v9, 4, v0
	v_mov_b32_e32 v0, 0xc00
	v_lshl_or_b32 v0, v9, 7, v0
	v_mul_u32_u24_e32 v34, 0x300, v9
	s_waitcnt lgkmcnt(0)
	v_mad_u64_u32 v[9:10], s[2:3], v16, s22, 0
	v_and_b32_e32 v17, 16, v11
	v_mov_b32_e32 v18, s13
	v_add_co_u32_e64 v22, s[2:3], s12, v17
	v_and_b32_e32 v11, -16, v11
	v_addc_co_u32_e64 v18, s[2:3], 0, v18, s[2:3]
	v_add_co_u32_e64 v36, s[2:3], s20, v11
	s_or_b64 s[8:9], vcc, s[0:1]
	v_mad_u64_u32 v[10:11], s[0:1], v16, s23, v[10:11]
	v_mov_b32_e32 v20, s21
	v_addc_co_u32_e64 v37, s[2:3], 0, v20, s[2:3]
	s_cmp_lg_u32 s24, 1
	v_add_co_u32_e64 v17, s[2:3], v22, v17
	s_cselect_b64 s[12:13], -1, 0
	s_cmp_eq_u32 s16, 0
	v_lshlrev_b64 v[9:10], 4, v[9:10]
	v_addc_co_u32_e64 v20, s[2:3], 0, v18, s[2:3]
	s_cselect_b64 vcc, -1, 0
	v_mov_b32_e32 v19, s21
	v_cndmask_b32_e32 v38, v18, v20, vcc
	v_cndmask_b32_e32 v39, v22, v17, vcc
	s_and_b64 s[0:1], vcc, exec
	v_add_co_u32_e32 v40, vcc, s20, v9
	v_addc_co_u32_e32 v41, vcc, v19, v10, vcc
	v_mul_u32_u24_e32 v21, 48, v33
	s_mov_b32 s28, s25
	s_mov_b64 s[4:5], 0
	v_lshl_or_b32 v35, v33, 3, v0
	s_cselect_b32 s29, 16, 32
	s_cselect_b32 s30, 24, 40
	v_add_u32_e32 v42, v34, v21
	s_lshl_b64 s[16:17], s[6:7], 4
	s_waitcnt vmcnt(0)
	v_subrev_co_u32_e32 v17, vcc, s25, v12
	v_subbrev_co_u32_e32 v18, vcc, 0, v13, vcc
	v_subrev_co_u32_e32 v19, vcc, s25, v14
	v_cmp_lt_i64_e64 s[0:1], v[12:13], v[14:15]
	v_subbrev_co_u32_e32 v20, vcc, 0, v15, vcc
	s_branch .LBB66_7
.LBB66_6:                               ;   in Loop: Header=BB66_7 Depth=1
	s_or_b64 exec, exec, s[2:3]
	s_add_u32 s4, s4, 16
	v_mov_b32_e32 v9, s18
	s_addc_u32 s5, s5, 0
	v_mov_b32_e32 v10, s19
	v_cmp_lt_i64_e32 vcc, s[4:5], v[9:10]
	s_cbranch_vccz .LBB66_27
.LBB66_7:                               ; =>This Loop Header: Depth=1
                                        ;     Child Loop BB66_10 Depth 2
                                        ;       Child Loop BB66_14 Depth 3
	v_mov_b32_e32 v23, 0
	v_mov_b32_e32 v25, 0
	;; [unrolled: 1-line block ×5, first 2 shown]
	v_or_b32_e32 v21, s4, v33
	s_and_saveexec_b64 s[20:21], s[0:1]
	s_cbranch_execz .LBB66_16
; %bb.8:                                ;   in Loop: Header=BB66_7 Depth=1
	v_lshlrev_b64 v[9:10], 4, v[21:22]
	v_cmp_gt_i64_e32 vcc, s[18:19], v[21:22]
	v_mov_b32_e32 v11, s15
	v_add_co_u32_e64 v43, s[2:3], s14, v9
	v_mov_b32_e32 v23, 0
	v_mov_b32_e32 v25, 0
	;; [unrolled: 1-line block ×3, first 2 shown]
	v_addc_co_u32_e64 v44, s[2:3], v11, v10, s[2:3]
	v_mov_b32_e32 v24, 0
	s_mov_b64 s[24:25], 0
	v_mov_b32_e32 v26, 0
	v_mov_b32_e32 v27, v17
	s_branch .LBB66_10
.LBB66_9:                               ;   in Loop: Header=BB66_10 Depth=2
	s_or_b64 exec, exec, s[26:27]
	v_add_co_u32_e64 v27, s[2:3], 16, v27
	v_addc_co_u32_e64 v28, s[2:3], 0, v28, s[2:3]
	v_cmp_ge_i64_e64 s[2:3], v[27:28], v[19:20]
	s_or_b64 s[24:25], s[2:3], s[24:25]
	s_andn2_b64 exec, exec, s[24:25]
	s_cbranch_execz .LBB66_15
.LBB66_10:                              ;   Parent Loop BB66_7 Depth=1
                                        ; =>  This Loop Header: Depth=2
                                        ;       Child Loop BB66_14 Depth 3
	v_add_co_u32_e64 v29, s[2:3], v27, v33
	v_addc_co_u32_e64 v30, s[2:3], 0, v28, s[2:3]
	v_cmp_lt_i64_e64 s[2:3], v[29:30], v[19:20]
	v_mov_b32_e32 v31, 0
	v_mov_b32_e32 v13, 0
	;; [unrolled: 1-line block ×10, first 2 shown]
	s_and_saveexec_b64 s[26:27], s[2:3]
	s_cbranch_execz .LBB66_12
; %bb.11:                               ;   in Loop: Header=BB66_10 Depth=2
	v_lshlrev_b64 v[9:10], 3, v[29:30]
	v_mov_b32_e32 v11, s11
	v_add_co_u32_e64 v9, s[2:3], s10, v9
	v_addc_co_u32_e64 v10, s[2:3], v11, v10, s[2:3]
	global_load_dwordx2 v[31:32], v[9:10], off
	v_lshlrev_b64 v[9:10], 6, v[29:30]
	v_add_co_u32_e64 v29, s[2:3], v39, v9
	v_addc_co_u32_e64 v30, s[2:3], v38, v10, s[2:3]
	v_add_co_u32_e64 v45, s[2:3], s29, v29
	v_addc_co_u32_e64 v46, s[2:3], 0, v30, s[2:3]
	;; [unrolled: 2-line block ×3, first 2 shown]
	global_load_dwordx4 v[13:16], v[29:30], off
	global_load_dwordx2 v[9:10], v[45:46], off
	global_load_dwordx2 v[11:12], v[47:48], off
	s_waitcnt vmcnt(3)
	v_subrev_co_u32_e64 v29, s[2:3], s28, v31
	v_subbrev_co_u32_e64 v30, s[2:3], 0, v32, s[2:3]
	v_lshlrev_b64 v[31:32], 1, v[29:30]
.LBB66_12:                              ;   in Loop: Header=BB66_10 Depth=2
	s_or_b64 exec, exec, s[26:27]
	ds_write_b64 v35, v[31:32]
	s_waitcnt vmcnt(2)
	ds_write_b128 v42, v[13:16]
	s_waitcnt vmcnt(0)
	ds_write_b128 v42, v[9:12] offset:16
	s_waitcnt lgkmcnt(0)
	; wave barrier
	s_and_saveexec_b64 s[26:27], vcc
	s_cbranch_execz .LBB66_9
; %bb.13:                               ;   in Loop: Header=BB66_10 Depth=2
	s_mov_b32 s31, 0
	v_mov_b32_e32 v9, v34
.LBB66_14:                              ;   Parent Loop BB66_7 Depth=1
                                        ;     Parent Loop BB66_10 Depth=2
                                        ; =>    This Inner Loop Header: Depth=3
	v_add_u32_e32 v10, s31, v0
	ds_read_b128 v[10:13], v10
	v_mov_b32_e32 v16, s17
	s_add_i32 s31, s31, 16
	s_cmpk_lg_i32 s31, 0x80
	s_waitcnt lgkmcnt(0)
	v_mul_lo_u32 v14, v11, s6
	v_mul_lo_u32 v15, v10, s7
	v_mad_u64_u32 v[10:11], s[2:3], v10, s6, 0
	v_mul_lo_u32 v13, v13, s6
	v_add3_u32 v11, v11, v15, v14
	v_lshlrev_b64 v[10:11], 4, v[10:11]
	v_mul_lo_u32 v14, v12, s7
	v_add_co_u32_e64 v10, s[2:3], v43, v10
	v_addc_co_u32_e64 v11, s[2:3], v44, v11, s[2:3]
	global_load_dwordx4 v[29:32], v[10:11], off
	v_add_co_u32_e64 v10, s[2:3], s16, v10
	v_addc_co_u32_e64 v11, s[2:3], v11, v16, s[2:3]
	global_load_dwordx4 v[45:48], v[10:11], off
	v_mad_u64_u32 v[10:11], s[2:3], v12, s6, 0
	v_add3_u32 v11, v11, v14, v13
	v_lshlrev_b64 v[10:11], 4, v[10:11]
	v_add_co_u32_e64 v14, s[2:3], v43, v10
	v_addc_co_u32_e64 v15, s[2:3], v44, v11, s[2:3]
	global_load_dwordx4 v[10:13], v[14:15], off
	v_add_co_u32_e64 v14, s[2:3], s16, v14
	v_addc_co_u32_e64 v15, s[2:3], v15, v16, s[2:3]
	global_load_dwordx4 v[49:52], v[14:15], off
	ds_read_b128 v[53:56], v9
	ds_read_b128 v[57:60], v9 offset:16
	s_waitcnt vmcnt(3) lgkmcnt(1)
	v_fma_f64 v[14:15], v[53:54], v[29:30], v[25:26]
	v_fma_f64 v[23:24], v[55:56], v[29:30], v[23:24]
	v_fma_f64 v[14:15], -v[55:56], v[31:32], v[14:15]
	v_fma_f64 v[23:24], v[53:54], v[31:32], v[23:24]
	s_waitcnt vmcnt(2) lgkmcnt(0)
	v_fma_f64 v[14:15], v[57:58], v[45:46], v[14:15]
	v_fma_f64 v[23:24], v[59:60], v[45:46], v[23:24]
	v_fma_f64 v[14:15], -v[59:60], v[47:48], v[14:15]
	v_fma_f64 v[45:46], v[57:58], v[47:48], v[23:24]
	ds_read_b128 v[23:26], v9 offset:48
	ds_read_b128 v[29:32], v9 offset:64
	v_add_u32_e32 v9, 0x60, v9
	s_waitcnt vmcnt(1) lgkmcnt(1)
	v_fma_f64 v[14:15], v[23:24], v[10:11], v[14:15]
	v_fma_f64 v[10:11], v[25:26], v[10:11], v[45:46]
	v_fma_f64 v[14:15], -v[25:26], v[12:13], v[14:15]
	v_fma_f64 v[10:11], v[23:24], v[12:13], v[10:11]
	s_waitcnt vmcnt(0) lgkmcnt(0)
	v_fma_f64 v[12:13], v[29:30], v[49:50], v[14:15]
	v_fma_f64 v[10:11], v[31:32], v[49:50], v[10:11]
	v_fma_f64 v[25:26], -v[31:32], v[51:52], v[12:13]
	v_fma_f64 v[23:24], v[29:30], v[51:52], v[10:11]
	s_cbranch_scc1 .LBB66_14
	s_branch .LBB66_9
.LBB66_15:                              ;   in Loop: Header=BB66_7 Depth=1
	s_or_b64 exec, exec, s[24:25]
.LBB66_16:                              ;   in Loop: Header=BB66_7 Depth=1
	s_or_b64 exec, exec, s[20:21]
	v_cmp_gt_i64_e32 vcc, s[18:19], v[21:22]
	s_and_saveexec_b64 s[2:3], vcc
	s_cbranch_execz .LBB66_6
; %bb.17:                               ;   in Loop: Header=BB66_7 Depth=1
	s_and_saveexec_b64 s[20:21], s[8:9]
	s_xor_b64 s[20:21], exec, s[20:21]
	s_cbranch_execz .LBB66_22
; %bb.18:                               ;   in Loop: Header=BB66_7 Depth=1
	s_mov_b64 s[24:25], -1
	s_and_b64 vcc, exec, s[12:13]
	s_cbranch_vccz .LBB66_20
; %bb.19:                               ;   in Loop: Header=BB66_7 Depth=1
	v_lshlrev_b64 v[9:10], 4, v[21:22]
	v_mul_f64 v[15:16], v[23:24], -v[3:4]
	v_add_co_u32_e32 v13, vcc, v40, v9
	v_addc_co_u32_e32 v14, vcc, v41, v10, vcc
	global_load_dwordx4 v[9:12], v[13:14], off
	v_mul_f64 v[27:28], v[1:2], v[23:24]
	s_mov_b64 s[24:25], 0
	v_fma_f64 v[15:16], v[1:2], v[25:26], v[15:16]
	v_fma_f64 v[27:28], v[3:4], v[25:26], v[27:28]
	s_waitcnt vmcnt(0)
	v_fma_f64 v[15:16], v[5:6], v[9:10], v[15:16]
	v_fma_f64 v[27:28], v[7:8], v[9:10], v[27:28]
	v_fma_f64 v[9:10], -v[7:8], v[11:12], v[15:16]
	v_fma_f64 v[11:12], v[5:6], v[11:12], v[27:28]
	global_store_dwordx4 v[13:14], v[9:12], off
.LBB66_20:                              ;   in Loop: Header=BB66_7 Depth=1
	s_andn2_b64 vcc, exec, s[24:25]
	s_cbranch_vccnz .LBB66_22
; %bb.21:                               ;   in Loop: Header=BB66_7 Depth=1
	v_mul_lo_u32 v11, v22, s22
	v_mul_lo_u32 v12, v21, s23
	v_mad_u64_u32 v[9:10], s[24:25], v21, s22, 0
	v_mul_f64 v[15:16], v[23:24], -v[3:4]
	v_mul_f64 v[21:22], v[1:2], v[23:24]
	v_add3_u32 v10, v10, v12, v11
	v_lshlrev_b64 v[9:10], 4, v[9:10]
                                        ; implicit-def: $vgpr23_vgpr24
	v_add_co_u32_e32 v13, vcc, v36, v9
	v_addc_co_u32_e32 v14, vcc, v37, v10, vcc
	global_load_dwordx4 v[9:12], v[13:14], off
	v_fma_f64 v[15:16], v[1:2], v[25:26], v[15:16]
	v_fma_f64 v[21:22], v[3:4], v[25:26], v[21:22]
                                        ; implicit-def: $vgpr25_vgpr26
	s_waitcnt vmcnt(0)
	v_fma_f64 v[15:16], v[5:6], v[9:10], v[15:16]
	v_fma_f64 v[21:22], v[7:8], v[9:10], v[21:22]
	v_fma_f64 v[9:10], -v[7:8], v[11:12], v[15:16]
	v_fma_f64 v[11:12], v[5:6], v[11:12], v[21:22]
                                        ; implicit-def: $vgpr21_vgpr22
	global_store_dwordx4 v[13:14], v[9:12], off
.LBB66_22:                              ;   in Loop: Header=BB66_7 Depth=1
	s_andn2_saveexec_b64 s[20:21], s[20:21]
	s_cbranch_execz .LBB66_6
; %bb.23:                               ;   in Loop: Header=BB66_7 Depth=1
	v_mul_f64 v[9:10], v[23:24], -v[3:4]
	v_mul_f64 v[11:12], v[1:2], v[23:24]
	s_mov_b64 s[20:21], -1
	s_and_b64 vcc, exec, s[12:13]
	v_fma_f64 v[9:10], v[1:2], v[25:26], v[9:10]
	v_fma_f64 v[11:12], v[3:4], v[25:26], v[11:12]
	s_cbranch_vccz .LBB66_25
; %bb.24:                               ;   in Loop: Header=BB66_7 Depth=1
	v_lshlrev_b64 v[13:14], 4, v[21:22]
	s_mov_b64 s[20:21], 0
	v_add_co_u32_e32 v13, vcc, v40, v13
	v_addc_co_u32_e32 v14, vcc, v41, v14, vcc
	global_store_dwordx4 v[13:14], v[9:12], off
.LBB66_25:                              ;   in Loop: Header=BB66_7 Depth=1
	s_andn2_b64 vcc, exec, s[20:21]
	s_cbranch_vccnz .LBB66_6
; %bb.26:                               ;   in Loop: Header=BB66_7 Depth=1
	v_mul_lo_u32 v15, v22, s22
	v_mul_lo_u32 v16, v21, s23
	v_mad_u64_u32 v[13:14], s[20:21], v21, s22, 0
	v_add3_u32 v14, v14, v16, v15
	v_lshlrev_b64 v[13:14], 4, v[13:14]
	v_add_co_u32_e32 v13, vcc, v36, v13
	v_addc_co_u32_e32 v14, vcc, v37, v14, vcc
	global_store_dwordx4 v[13:14], v[9:12], off
	s_branch .LBB66_6
.LBB66_27:
	s_endpgm
	.section	.rodata,"a",@progbits
	.p2align	6, 0x0
	.amdhsa_kernel _ZN9rocsparseL29bsrmmnt_small_blockdim_kernelILj64ELj16ELj2Ell21rocsparse_complex_numIdES2_S2_S2_EEv20rocsparse_direction_T3_S4_llNS_24const_host_device_scalarIT7_EEPKT2_PKS4_PKT4_PKT5_llS7_PT6_ll16rocsparse_order_21rocsparse_index_base_b
		.amdhsa_group_segment_fixed_size 3584
		.amdhsa_private_segment_fixed_size 0
		.amdhsa_kernarg_size 416
		.amdhsa_user_sgpr_count 6
		.amdhsa_user_sgpr_private_segment_buffer 1
		.amdhsa_user_sgpr_dispatch_ptr 0
		.amdhsa_user_sgpr_queue_ptr 0
		.amdhsa_user_sgpr_kernarg_segment_ptr 1
		.amdhsa_user_sgpr_dispatch_id 0
		.amdhsa_user_sgpr_flat_scratch_init 0
		.amdhsa_user_sgpr_private_segment_size 0
		.amdhsa_uses_dynamic_stack 0
		.amdhsa_system_sgpr_private_segment_wavefront_offset 0
		.amdhsa_system_sgpr_workgroup_id_x 1
		.amdhsa_system_sgpr_workgroup_id_y 0
		.amdhsa_system_sgpr_workgroup_id_z 0
		.amdhsa_system_sgpr_workgroup_info 0
		.amdhsa_system_vgpr_workitem_id 0
		.amdhsa_next_free_vgpr 61
		.amdhsa_next_free_sgpr 98
		.amdhsa_reserve_vcc 1
		.amdhsa_reserve_flat_scratch 0
		.amdhsa_float_round_mode_32 0
		.amdhsa_float_round_mode_16_64 0
		.amdhsa_float_denorm_mode_32 3
		.amdhsa_float_denorm_mode_16_64 3
		.amdhsa_dx10_clamp 1
		.amdhsa_ieee_mode 1
		.amdhsa_fp16_overflow 0
		.amdhsa_exception_fp_ieee_invalid_op 0
		.amdhsa_exception_fp_denorm_src 0
		.amdhsa_exception_fp_ieee_div_zero 0
		.amdhsa_exception_fp_ieee_overflow 0
		.amdhsa_exception_fp_ieee_underflow 0
		.amdhsa_exception_fp_ieee_inexact 0
		.amdhsa_exception_int_div_zero 0
	.end_amdhsa_kernel
	.section	.text._ZN9rocsparseL29bsrmmnt_small_blockdim_kernelILj64ELj16ELj2Ell21rocsparse_complex_numIdES2_S2_S2_EEv20rocsparse_direction_T3_S4_llNS_24const_host_device_scalarIT7_EEPKT2_PKS4_PKT4_PKT5_llS7_PT6_ll16rocsparse_order_21rocsparse_index_base_b,"axG",@progbits,_ZN9rocsparseL29bsrmmnt_small_blockdim_kernelILj64ELj16ELj2Ell21rocsparse_complex_numIdES2_S2_S2_EEv20rocsparse_direction_T3_S4_llNS_24const_host_device_scalarIT7_EEPKT2_PKS4_PKT4_PKT5_llS7_PT6_ll16rocsparse_order_21rocsparse_index_base_b,comdat
.Lfunc_end66:
	.size	_ZN9rocsparseL29bsrmmnt_small_blockdim_kernelILj64ELj16ELj2Ell21rocsparse_complex_numIdES2_S2_S2_EEv20rocsparse_direction_T3_S4_llNS_24const_host_device_scalarIT7_EEPKT2_PKS4_PKT4_PKT5_llS7_PT6_ll16rocsparse_order_21rocsparse_index_base_b, .Lfunc_end66-_ZN9rocsparseL29bsrmmnt_small_blockdim_kernelILj64ELj16ELj2Ell21rocsparse_complex_numIdES2_S2_S2_EEv20rocsparse_direction_T3_S4_llNS_24const_host_device_scalarIT7_EEPKT2_PKS4_PKT4_PKT5_llS7_PT6_ll16rocsparse_order_21rocsparse_index_base_b
                                        ; -- End function
	.set _ZN9rocsparseL29bsrmmnt_small_blockdim_kernelILj64ELj16ELj2Ell21rocsparse_complex_numIdES2_S2_S2_EEv20rocsparse_direction_T3_S4_llNS_24const_host_device_scalarIT7_EEPKT2_PKS4_PKT4_PKT5_llS7_PT6_ll16rocsparse_order_21rocsparse_index_base_b.num_vgpr, 61
	.set _ZN9rocsparseL29bsrmmnt_small_blockdim_kernelILj64ELj16ELj2Ell21rocsparse_complex_numIdES2_S2_S2_EEv20rocsparse_direction_T3_S4_llNS_24const_host_device_scalarIT7_EEPKT2_PKS4_PKT4_PKT5_llS7_PT6_ll16rocsparse_order_21rocsparse_index_base_b.num_agpr, 0
	.set _ZN9rocsparseL29bsrmmnt_small_blockdim_kernelILj64ELj16ELj2Ell21rocsparse_complex_numIdES2_S2_S2_EEv20rocsparse_direction_T3_S4_llNS_24const_host_device_scalarIT7_EEPKT2_PKS4_PKT4_PKT5_llS7_PT6_ll16rocsparse_order_21rocsparse_index_base_b.numbered_sgpr, 32
	.set _ZN9rocsparseL29bsrmmnt_small_blockdim_kernelILj64ELj16ELj2Ell21rocsparse_complex_numIdES2_S2_S2_EEv20rocsparse_direction_T3_S4_llNS_24const_host_device_scalarIT7_EEPKT2_PKS4_PKT4_PKT5_llS7_PT6_ll16rocsparse_order_21rocsparse_index_base_b.num_named_barrier, 0
	.set _ZN9rocsparseL29bsrmmnt_small_blockdim_kernelILj64ELj16ELj2Ell21rocsparse_complex_numIdES2_S2_S2_EEv20rocsparse_direction_T3_S4_llNS_24const_host_device_scalarIT7_EEPKT2_PKS4_PKT4_PKT5_llS7_PT6_ll16rocsparse_order_21rocsparse_index_base_b.private_seg_size, 0
	.set _ZN9rocsparseL29bsrmmnt_small_blockdim_kernelILj64ELj16ELj2Ell21rocsparse_complex_numIdES2_S2_S2_EEv20rocsparse_direction_T3_S4_llNS_24const_host_device_scalarIT7_EEPKT2_PKS4_PKT4_PKT5_llS7_PT6_ll16rocsparse_order_21rocsparse_index_base_b.uses_vcc, 1
	.set _ZN9rocsparseL29bsrmmnt_small_blockdim_kernelILj64ELj16ELj2Ell21rocsparse_complex_numIdES2_S2_S2_EEv20rocsparse_direction_T3_S4_llNS_24const_host_device_scalarIT7_EEPKT2_PKS4_PKT4_PKT5_llS7_PT6_ll16rocsparse_order_21rocsparse_index_base_b.uses_flat_scratch, 0
	.set _ZN9rocsparseL29bsrmmnt_small_blockdim_kernelILj64ELj16ELj2Ell21rocsparse_complex_numIdES2_S2_S2_EEv20rocsparse_direction_T3_S4_llNS_24const_host_device_scalarIT7_EEPKT2_PKS4_PKT4_PKT5_llS7_PT6_ll16rocsparse_order_21rocsparse_index_base_b.has_dyn_sized_stack, 0
	.set _ZN9rocsparseL29bsrmmnt_small_blockdim_kernelILj64ELj16ELj2Ell21rocsparse_complex_numIdES2_S2_S2_EEv20rocsparse_direction_T3_S4_llNS_24const_host_device_scalarIT7_EEPKT2_PKS4_PKT4_PKT5_llS7_PT6_ll16rocsparse_order_21rocsparse_index_base_b.has_recursion, 0
	.set _ZN9rocsparseL29bsrmmnt_small_blockdim_kernelILj64ELj16ELj2Ell21rocsparse_complex_numIdES2_S2_S2_EEv20rocsparse_direction_T3_S4_llNS_24const_host_device_scalarIT7_EEPKT2_PKS4_PKT4_PKT5_llS7_PT6_ll16rocsparse_order_21rocsparse_index_base_b.has_indirect_call, 0
	.section	.AMDGPU.csdata,"",@progbits
; Kernel info:
; codeLenInByte = 1816
; TotalNumSgprs: 36
; NumVgprs: 61
; ScratchSize: 0
; MemoryBound: 0
; FloatMode: 240
; IeeeMode: 1
; LDSByteSize: 3584 bytes/workgroup (compile time only)
; SGPRBlocks: 12
; VGPRBlocks: 15
; NumSGPRsForWavesPerEU: 102
; NumVGPRsForWavesPerEU: 61
; Occupancy: 4
; WaveLimiterHint : 1
; COMPUTE_PGM_RSRC2:SCRATCH_EN: 0
; COMPUTE_PGM_RSRC2:USER_SGPR: 6
; COMPUTE_PGM_RSRC2:TRAP_HANDLER: 0
; COMPUTE_PGM_RSRC2:TGID_X_EN: 1
; COMPUTE_PGM_RSRC2:TGID_Y_EN: 0
; COMPUTE_PGM_RSRC2:TGID_Z_EN: 0
; COMPUTE_PGM_RSRC2:TIDIG_COMP_CNT: 0
	.section	.text._ZN9rocsparseL29bsrmmnt_small_blockdim_kernelILj64ELj32ELj2Ell21rocsparse_complex_numIdES2_S2_S2_EEv20rocsparse_direction_T3_S4_llNS_24const_host_device_scalarIT7_EEPKT2_PKS4_PKT4_PKT5_llS7_PT6_ll16rocsparse_order_21rocsparse_index_base_b,"axG",@progbits,_ZN9rocsparseL29bsrmmnt_small_blockdim_kernelILj64ELj32ELj2Ell21rocsparse_complex_numIdES2_S2_S2_EEv20rocsparse_direction_T3_S4_llNS_24const_host_device_scalarIT7_EEPKT2_PKS4_PKT4_PKT5_llS7_PT6_ll16rocsparse_order_21rocsparse_index_base_b,comdat
	.globl	_ZN9rocsparseL29bsrmmnt_small_blockdim_kernelILj64ELj32ELj2Ell21rocsparse_complex_numIdES2_S2_S2_EEv20rocsparse_direction_T3_S4_llNS_24const_host_device_scalarIT7_EEPKT2_PKS4_PKT4_PKT5_llS7_PT6_ll16rocsparse_order_21rocsparse_index_base_b ; -- Begin function _ZN9rocsparseL29bsrmmnt_small_blockdim_kernelILj64ELj32ELj2Ell21rocsparse_complex_numIdES2_S2_S2_EEv20rocsparse_direction_T3_S4_llNS_24const_host_device_scalarIT7_EEPKT2_PKS4_PKT4_PKT5_llS7_PT6_ll16rocsparse_order_21rocsparse_index_base_b
	.p2align	8
	.type	_ZN9rocsparseL29bsrmmnt_small_blockdim_kernelILj64ELj32ELj2Ell21rocsparse_complex_numIdES2_S2_S2_EEv20rocsparse_direction_T3_S4_llNS_24const_host_device_scalarIT7_EEPKT2_PKS4_PKT4_PKT5_llS7_PT6_ll16rocsparse_order_21rocsparse_index_base_b,@function
_ZN9rocsparseL29bsrmmnt_small_blockdim_kernelILj64ELj32ELj2Ell21rocsparse_complex_numIdES2_S2_S2_EEv20rocsparse_direction_T3_S4_llNS_24const_host_device_scalarIT7_EEPKT2_PKS4_PKT4_PKT5_llS7_PT6_ll16rocsparse_order_21rocsparse_index_base_b: ; @_ZN9rocsparseL29bsrmmnt_small_blockdim_kernelILj64ELj32ELj2Ell21rocsparse_complex_numIdES2_S2_S2_EEv20rocsparse_direction_T3_S4_llNS_24const_host_device_scalarIT7_EEPKT2_PKS4_PKT4_PKT5_llS7_PT6_ll16rocsparse_order_21rocsparse_index_base_b
; %bb.0:
	s_load_dwordx2 s[0:1], s[4:5], 0x28
	s_load_dwordx4 s[24:27], s[4:5], 0x90
	s_add_u32 s7, s4, 40
	s_addc_u32 s8, s5, 0
	s_add_u32 s9, s4, 0x68
	s_addc_u32 s10, s5, 0
	s_waitcnt lgkmcnt(0)
	s_bitcmp1_b32 s26, 0
	s_cselect_b32 s1, s8, s1
	s_cselect_b32 s0, s7, s0
	v_mov_b32_e32 v1, s0
	v_mov_b32_e32 v2, s1
	flat_load_dwordx4 v[1:4], v[1:2]
	s_load_dwordx2 s[2:3], s[4:5], 0x68
	s_waitcnt lgkmcnt(0)
	s_cselect_b32 s0, s10, s3
	s_cselect_b32 s1, s9, s2
	v_mov_b32_e32 v5, s1
	v_mov_b32_e32 v6, s0
	flat_load_dwordx4 v[5:8], v[5:6]
	s_waitcnt vmcnt(0)
	v_cmp_eq_f64_e32 vcc, 0, v[1:2]
	v_cmp_eq_f64_e64 s[0:1], 0, v[3:4]
	s_and_b64 s[8:9], vcc, s[0:1]
	s_mov_b64 s[0:1], -1
	s_and_saveexec_b64 s[2:3], s[8:9]
	s_cbranch_execz .LBB67_2
; %bb.1:
	s_waitcnt lgkmcnt(0)
	v_cmp_neq_f64_e32 vcc, 1.0, v[5:6]
	v_cmp_neq_f64_e64 s[0:1], 0, v[7:8]
	s_or_b64 s[0:1], vcc, s[0:1]
	s_orn2_b64 s[0:1], s[0:1], exec
.LBB67_2:
	s_or_b64 exec, exec, s[2:3]
	s_and_saveexec_b64 s[2:3], s[0:1]
	s_cbranch_execz .LBB67_27
; %bb.3:
	s_load_dword s0, s[4:5], 0xac
	s_load_dwordx4 s[16:19], s[4:5], 0x8
	v_mov_b32_e32 v10, 0
	s_waitcnt lgkmcnt(0)
	s_and_b32 s0, s0, 0xffff
	s_mul_i32 s6, s6, s0
	v_add_u32_e32 v11, s6, v0
	v_lshrrev_b32_e32 v9, 6, v11
	v_cmp_gt_i64_e32 vcc, s[16:17], v[9:10]
	s_and_b64 exec, exec, vcc
	s_cbranch_execz .LBB67_27
; %bb.4:
	v_cmp_lt_i64_e64 s[0:1], s[18:19], 1
	s_and_b64 vcc, exec, s[0:1]
	s_cbranch_vccnz .LBB67_27
; %bb.5:
	s_load_dwordx8 s[8:15], s[4:5], 0x38
	v_lshlrev_b32_e32 v9, 3, v9
	v_cmp_neq_f64_e32 vcc, 0, v[5:6]
	v_cmp_neq_f64_e64 s[0:1], 0, v[7:8]
	v_lshrrev_b32_e32 v11, 5, v11
	s_waitcnt lgkmcnt(0)
	global_load_dwordx4 v[12:15], v9, s[8:9]
	s_load_dword s16, s[4:5], 0x0
	s_load_dwordx4 s[20:23], s[4:5], 0x78
	s_load_dwordx2 s[6:7], s[4:5], 0x58
	v_and_b32_e32 v33, 31, v0
	v_lshrrev_b32_e32 v9, 5, v0
	v_mov_b32_e32 v0, 0xc00
	v_lshl_or_b32 v0, v9, 8, v0
	v_mul_u32_u24_e32 v34, 0x600, v9
	s_waitcnt lgkmcnt(0)
	v_mad_u64_u32 v[9:10], s[2:3], v11, s22, 0
	v_lshlrev_b32_e32 v16, 4, v11
	v_and_b32_e32 v17, 16, v16
	v_mov_b32_e32 v18, s13
	v_add_co_u32_e64 v22, s[2:3], s12, v17
	s_or_b64 s[8:9], vcc, s[0:1]
	v_mad_u64_u32 v[10:11], s[0:1], v11, s23, v[10:11]
	v_addc_co_u32_e64 v18, s[2:3], 0, v18, s[2:3]
	v_mov_b32_e32 v20, s21
	v_add_co_u32_e64 v36, s[2:3], s20, v16
	v_addc_co_u32_e64 v37, s[2:3], 0, v20, s[2:3]
	s_cmp_lg_u32 s24, 1
	v_add_co_u32_e64 v16, s[2:3], v22, v17
	s_cselect_b64 s[12:13], -1, 0
	s_cmp_eq_u32 s16, 0
	v_lshlrev_b64 v[9:10], 4, v[9:10]
	v_addc_co_u32_e64 v17, s[2:3], 0, v18, s[2:3]
	s_cselect_b64 vcc, -1, 0
	v_mov_b32_e32 v19, s21
	v_cndmask_b32_e32 v38, v18, v17, vcc
	v_cndmask_b32_e32 v39, v22, v16, vcc
	s_and_b64 s[0:1], vcc, exec
	v_add_co_u32_e32 v40, vcc, s20, v9
	v_addc_co_u32_e32 v41, vcc, v19, v10, vcc
	v_mul_u32_u24_e32 v21, 48, v33
	s_mov_b32 s28, s25
	s_mov_b64 s[4:5], 0
	v_lshl_or_b32 v35, v33, 3, v0
	s_cselect_b32 s29, 16, 32
	s_cselect_b32 s30, 24, 40
	v_add_u32_e32 v42, v34, v21
	s_lshl_b64 s[16:17], s[6:7], 4
	s_waitcnt vmcnt(0)
	v_subrev_co_u32_e32 v17, vcc, s25, v12
	v_subbrev_co_u32_e32 v18, vcc, 0, v13, vcc
	v_subrev_co_u32_e32 v19, vcc, s25, v14
	v_cmp_lt_i64_e64 s[0:1], v[12:13], v[14:15]
	v_subbrev_co_u32_e32 v20, vcc, 0, v15, vcc
	s_branch .LBB67_7
.LBB67_6:                               ;   in Loop: Header=BB67_7 Depth=1
	s_or_b64 exec, exec, s[2:3]
	s_add_u32 s4, s4, 32
	v_mov_b32_e32 v9, s18
	s_addc_u32 s5, s5, 0
	v_mov_b32_e32 v10, s19
	v_cmp_lt_i64_e32 vcc, s[4:5], v[9:10]
	s_cbranch_vccz .LBB67_27
.LBB67_7:                               ; =>This Loop Header: Depth=1
                                        ;     Child Loop BB67_10 Depth 2
                                        ;       Child Loop BB67_14 Depth 3
	v_mov_b32_e32 v23, 0
	v_mov_b32_e32 v25, 0
	;; [unrolled: 1-line block ×5, first 2 shown]
	v_or_b32_e32 v21, s4, v33
	s_and_saveexec_b64 s[20:21], s[0:1]
	s_cbranch_execz .LBB67_16
; %bb.8:                                ;   in Loop: Header=BB67_7 Depth=1
	v_lshlrev_b64 v[9:10], 4, v[21:22]
	v_cmp_gt_i64_e32 vcc, s[18:19], v[21:22]
	v_mov_b32_e32 v11, s15
	v_add_co_u32_e64 v43, s[2:3], s14, v9
	v_mov_b32_e32 v23, 0
	v_mov_b32_e32 v25, 0
	;; [unrolled: 1-line block ×3, first 2 shown]
	v_addc_co_u32_e64 v44, s[2:3], v11, v10, s[2:3]
	v_mov_b32_e32 v24, 0
	s_mov_b64 s[24:25], 0
	v_mov_b32_e32 v26, 0
	v_mov_b32_e32 v27, v17
	s_branch .LBB67_10
.LBB67_9:                               ;   in Loop: Header=BB67_10 Depth=2
	s_or_b64 exec, exec, s[26:27]
	v_add_co_u32_e64 v27, s[2:3], 32, v27
	v_addc_co_u32_e64 v28, s[2:3], 0, v28, s[2:3]
	v_cmp_ge_i64_e64 s[2:3], v[27:28], v[19:20]
	s_or_b64 s[24:25], s[2:3], s[24:25]
	s_andn2_b64 exec, exec, s[24:25]
	s_cbranch_execz .LBB67_15
.LBB67_10:                              ;   Parent Loop BB67_7 Depth=1
                                        ; =>  This Loop Header: Depth=2
                                        ;       Child Loop BB67_14 Depth 3
	v_add_co_u32_e64 v29, s[2:3], v27, v33
	v_addc_co_u32_e64 v30, s[2:3], 0, v28, s[2:3]
	v_cmp_lt_i64_e64 s[2:3], v[29:30], v[19:20]
	v_mov_b32_e32 v31, 0
	v_mov_b32_e32 v13, 0
	;; [unrolled: 1-line block ×10, first 2 shown]
	s_and_saveexec_b64 s[26:27], s[2:3]
	s_cbranch_execz .LBB67_12
; %bb.11:                               ;   in Loop: Header=BB67_10 Depth=2
	v_lshlrev_b64 v[9:10], 3, v[29:30]
	v_mov_b32_e32 v11, s11
	v_add_co_u32_e64 v9, s[2:3], s10, v9
	v_addc_co_u32_e64 v10, s[2:3], v11, v10, s[2:3]
	global_load_dwordx2 v[31:32], v[9:10], off
	v_lshlrev_b64 v[9:10], 6, v[29:30]
	v_add_co_u32_e64 v29, s[2:3], v39, v9
	v_addc_co_u32_e64 v30, s[2:3], v38, v10, s[2:3]
	v_add_co_u32_e64 v45, s[2:3], s29, v29
	v_addc_co_u32_e64 v46, s[2:3], 0, v30, s[2:3]
	;; [unrolled: 2-line block ×3, first 2 shown]
	global_load_dwordx4 v[13:16], v[29:30], off
	global_load_dwordx2 v[9:10], v[45:46], off
	global_load_dwordx2 v[11:12], v[47:48], off
	s_waitcnt vmcnt(3)
	v_subrev_co_u32_e64 v29, s[2:3], s28, v31
	v_subbrev_co_u32_e64 v30, s[2:3], 0, v32, s[2:3]
	v_lshlrev_b64 v[31:32], 1, v[29:30]
.LBB67_12:                              ;   in Loop: Header=BB67_10 Depth=2
	s_or_b64 exec, exec, s[26:27]
	ds_write_b64 v35, v[31:32]
	s_waitcnt vmcnt(2)
	ds_write_b128 v42, v[13:16]
	s_waitcnt vmcnt(0)
	ds_write_b128 v42, v[9:12] offset:16
	s_waitcnt lgkmcnt(0)
	; wave barrier
	s_and_saveexec_b64 s[26:27], vcc
	s_cbranch_execz .LBB67_9
; %bb.13:                               ;   in Loop: Header=BB67_10 Depth=2
	s_mov_b32 s31, 0
	v_mov_b32_e32 v9, v34
.LBB67_14:                              ;   Parent Loop BB67_7 Depth=1
                                        ;     Parent Loop BB67_10 Depth=2
                                        ; =>    This Inner Loop Header: Depth=3
	v_add_u32_e32 v10, s31, v0
	ds_read_b128 v[10:13], v10
	v_mov_b32_e32 v16, s17
	s_add_i32 s31, s31, 16
	s_cmpk_lg_i32 s31, 0x100
	s_waitcnt lgkmcnt(0)
	v_mul_lo_u32 v14, v11, s6
	v_mul_lo_u32 v15, v10, s7
	v_mad_u64_u32 v[10:11], s[2:3], v10, s6, 0
	v_mul_lo_u32 v13, v13, s6
	v_add3_u32 v11, v11, v15, v14
	v_lshlrev_b64 v[10:11], 4, v[10:11]
	v_mul_lo_u32 v14, v12, s7
	v_add_co_u32_e64 v10, s[2:3], v43, v10
	v_addc_co_u32_e64 v11, s[2:3], v44, v11, s[2:3]
	global_load_dwordx4 v[29:32], v[10:11], off
	v_add_co_u32_e64 v10, s[2:3], s16, v10
	v_addc_co_u32_e64 v11, s[2:3], v11, v16, s[2:3]
	global_load_dwordx4 v[45:48], v[10:11], off
	v_mad_u64_u32 v[10:11], s[2:3], v12, s6, 0
	v_add3_u32 v11, v11, v14, v13
	v_lshlrev_b64 v[10:11], 4, v[10:11]
	v_add_co_u32_e64 v14, s[2:3], v43, v10
	v_addc_co_u32_e64 v15, s[2:3], v44, v11, s[2:3]
	global_load_dwordx4 v[10:13], v[14:15], off
	v_add_co_u32_e64 v14, s[2:3], s16, v14
	v_addc_co_u32_e64 v15, s[2:3], v15, v16, s[2:3]
	global_load_dwordx4 v[49:52], v[14:15], off
	ds_read_b128 v[53:56], v9
	ds_read_b128 v[57:60], v9 offset:16
	s_waitcnt vmcnt(3) lgkmcnt(1)
	v_fma_f64 v[14:15], v[53:54], v[29:30], v[25:26]
	v_fma_f64 v[23:24], v[55:56], v[29:30], v[23:24]
	v_fma_f64 v[14:15], -v[55:56], v[31:32], v[14:15]
	v_fma_f64 v[23:24], v[53:54], v[31:32], v[23:24]
	s_waitcnt vmcnt(2) lgkmcnt(0)
	v_fma_f64 v[14:15], v[57:58], v[45:46], v[14:15]
	v_fma_f64 v[23:24], v[59:60], v[45:46], v[23:24]
	v_fma_f64 v[14:15], -v[59:60], v[47:48], v[14:15]
	v_fma_f64 v[45:46], v[57:58], v[47:48], v[23:24]
	ds_read_b128 v[23:26], v9 offset:48
	ds_read_b128 v[29:32], v9 offset:64
	v_add_u32_e32 v9, 0x60, v9
	s_waitcnt vmcnt(1) lgkmcnt(1)
	v_fma_f64 v[14:15], v[23:24], v[10:11], v[14:15]
	v_fma_f64 v[10:11], v[25:26], v[10:11], v[45:46]
	v_fma_f64 v[14:15], -v[25:26], v[12:13], v[14:15]
	v_fma_f64 v[10:11], v[23:24], v[12:13], v[10:11]
	s_waitcnt vmcnt(0) lgkmcnt(0)
	v_fma_f64 v[12:13], v[29:30], v[49:50], v[14:15]
	v_fma_f64 v[10:11], v[31:32], v[49:50], v[10:11]
	v_fma_f64 v[25:26], -v[31:32], v[51:52], v[12:13]
	v_fma_f64 v[23:24], v[29:30], v[51:52], v[10:11]
	s_cbranch_scc1 .LBB67_14
	s_branch .LBB67_9
.LBB67_15:                              ;   in Loop: Header=BB67_7 Depth=1
	s_or_b64 exec, exec, s[24:25]
.LBB67_16:                              ;   in Loop: Header=BB67_7 Depth=1
	s_or_b64 exec, exec, s[20:21]
	v_cmp_gt_i64_e32 vcc, s[18:19], v[21:22]
	s_and_saveexec_b64 s[2:3], vcc
	s_cbranch_execz .LBB67_6
; %bb.17:                               ;   in Loop: Header=BB67_7 Depth=1
	s_and_saveexec_b64 s[20:21], s[8:9]
	s_xor_b64 s[20:21], exec, s[20:21]
	s_cbranch_execz .LBB67_22
; %bb.18:                               ;   in Loop: Header=BB67_7 Depth=1
	s_mov_b64 s[24:25], -1
	s_and_b64 vcc, exec, s[12:13]
	s_cbranch_vccz .LBB67_20
; %bb.19:                               ;   in Loop: Header=BB67_7 Depth=1
	v_lshlrev_b64 v[9:10], 4, v[21:22]
	v_mul_f64 v[15:16], v[23:24], -v[3:4]
	v_add_co_u32_e32 v13, vcc, v40, v9
	v_addc_co_u32_e32 v14, vcc, v41, v10, vcc
	global_load_dwordx4 v[9:12], v[13:14], off
	v_mul_f64 v[27:28], v[1:2], v[23:24]
	s_mov_b64 s[24:25], 0
	v_fma_f64 v[15:16], v[1:2], v[25:26], v[15:16]
	v_fma_f64 v[27:28], v[3:4], v[25:26], v[27:28]
	s_waitcnt vmcnt(0)
	v_fma_f64 v[15:16], v[5:6], v[9:10], v[15:16]
	v_fma_f64 v[27:28], v[7:8], v[9:10], v[27:28]
	v_fma_f64 v[9:10], -v[7:8], v[11:12], v[15:16]
	v_fma_f64 v[11:12], v[5:6], v[11:12], v[27:28]
	global_store_dwordx4 v[13:14], v[9:12], off
.LBB67_20:                              ;   in Loop: Header=BB67_7 Depth=1
	s_andn2_b64 vcc, exec, s[24:25]
	s_cbranch_vccnz .LBB67_22
; %bb.21:                               ;   in Loop: Header=BB67_7 Depth=1
	v_mul_lo_u32 v11, v22, s22
	v_mul_lo_u32 v12, v21, s23
	v_mad_u64_u32 v[9:10], s[24:25], v21, s22, 0
	v_mul_f64 v[15:16], v[23:24], -v[3:4]
	v_mul_f64 v[21:22], v[1:2], v[23:24]
	v_add3_u32 v10, v10, v12, v11
	v_lshlrev_b64 v[9:10], 4, v[9:10]
                                        ; implicit-def: $vgpr23_vgpr24
	v_add_co_u32_e32 v13, vcc, v36, v9
	v_addc_co_u32_e32 v14, vcc, v37, v10, vcc
	global_load_dwordx4 v[9:12], v[13:14], off
	v_fma_f64 v[15:16], v[1:2], v[25:26], v[15:16]
	v_fma_f64 v[21:22], v[3:4], v[25:26], v[21:22]
                                        ; implicit-def: $vgpr25_vgpr26
	s_waitcnt vmcnt(0)
	v_fma_f64 v[15:16], v[5:6], v[9:10], v[15:16]
	v_fma_f64 v[21:22], v[7:8], v[9:10], v[21:22]
	v_fma_f64 v[9:10], -v[7:8], v[11:12], v[15:16]
	v_fma_f64 v[11:12], v[5:6], v[11:12], v[21:22]
                                        ; implicit-def: $vgpr21_vgpr22
	global_store_dwordx4 v[13:14], v[9:12], off
.LBB67_22:                              ;   in Loop: Header=BB67_7 Depth=1
	s_andn2_saveexec_b64 s[20:21], s[20:21]
	s_cbranch_execz .LBB67_6
; %bb.23:                               ;   in Loop: Header=BB67_7 Depth=1
	v_mul_f64 v[9:10], v[23:24], -v[3:4]
	v_mul_f64 v[11:12], v[1:2], v[23:24]
	s_mov_b64 s[20:21], -1
	s_and_b64 vcc, exec, s[12:13]
	v_fma_f64 v[9:10], v[1:2], v[25:26], v[9:10]
	v_fma_f64 v[11:12], v[3:4], v[25:26], v[11:12]
	s_cbranch_vccz .LBB67_25
; %bb.24:                               ;   in Loop: Header=BB67_7 Depth=1
	v_lshlrev_b64 v[13:14], 4, v[21:22]
	s_mov_b64 s[20:21], 0
	v_add_co_u32_e32 v13, vcc, v40, v13
	v_addc_co_u32_e32 v14, vcc, v41, v14, vcc
	global_store_dwordx4 v[13:14], v[9:12], off
.LBB67_25:                              ;   in Loop: Header=BB67_7 Depth=1
	s_andn2_b64 vcc, exec, s[20:21]
	s_cbranch_vccnz .LBB67_6
; %bb.26:                               ;   in Loop: Header=BB67_7 Depth=1
	v_mul_lo_u32 v15, v22, s22
	v_mul_lo_u32 v16, v21, s23
	v_mad_u64_u32 v[13:14], s[20:21], v21, s22, 0
	v_add3_u32 v14, v14, v16, v15
	v_lshlrev_b64 v[13:14], 4, v[13:14]
	v_add_co_u32_e32 v13, vcc, v36, v13
	v_addc_co_u32_e32 v14, vcc, v37, v14, vcc
	global_store_dwordx4 v[13:14], v[9:12], off
	s_branch .LBB67_6
.LBB67_27:
	s_endpgm
	.section	.rodata,"a",@progbits
	.p2align	6, 0x0
	.amdhsa_kernel _ZN9rocsparseL29bsrmmnt_small_blockdim_kernelILj64ELj32ELj2Ell21rocsparse_complex_numIdES2_S2_S2_EEv20rocsparse_direction_T3_S4_llNS_24const_host_device_scalarIT7_EEPKT2_PKS4_PKT4_PKT5_llS7_PT6_ll16rocsparse_order_21rocsparse_index_base_b
		.amdhsa_group_segment_fixed_size 3584
		.amdhsa_private_segment_fixed_size 0
		.amdhsa_kernarg_size 416
		.amdhsa_user_sgpr_count 6
		.amdhsa_user_sgpr_private_segment_buffer 1
		.amdhsa_user_sgpr_dispatch_ptr 0
		.amdhsa_user_sgpr_queue_ptr 0
		.amdhsa_user_sgpr_kernarg_segment_ptr 1
		.amdhsa_user_sgpr_dispatch_id 0
		.amdhsa_user_sgpr_flat_scratch_init 0
		.amdhsa_user_sgpr_private_segment_size 0
		.amdhsa_uses_dynamic_stack 0
		.amdhsa_system_sgpr_private_segment_wavefront_offset 0
		.amdhsa_system_sgpr_workgroup_id_x 1
		.amdhsa_system_sgpr_workgroup_id_y 0
		.amdhsa_system_sgpr_workgroup_id_z 0
		.amdhsa_system_sgpr_workgroup_info 0
		.amdhsa_system_vgpr_workitem_id 0
		.amdhsa_next_free_vgpr 61
		.amdhsa_next_free_sgpr 98
		.amdhsa_reserve_vcc 1
		.amdhsa_reserve_flat_scratch 0
		.amdhsa_float_round_mode_32 0
		.amdhsa_float_round_mode_16_64 0
		.amdhsa_float_denorm_mode_32 3
		.amdhsa_float_denorm_mode_16_64 3
		.amdhsa_dx10_clamp 1
		.amdhsa_ieee_mode 1
		.amdhsa_fp16_overflow 0
		.amdhsa_exception_fp_ieee_invalid_op 0
		.amdhsa_exception_fp_denorm_src 0
		.amdhsa_exception_fp_ieee_div_zero 0
		.amdhsa_exception_fp_ieee_overflow 0
		.amdhsa_exception_fp_ieee_underflow 0
		.amdhsa_exception_fp_ieee_inexact 0
		.amdhsa_exception_int_div_zero 0
	.end_amdhsa_kernel
	.section	.text._ZN9rocsparseL29bsrmmnt_small_blockdim_kernelILj64ELj32ELj2Ell21rocsparse_complex_numIdES2_S2_S2_EEv20rocsparse_direction_T3_S4_llNS_24const_host_device_scalarIT7_EEPKT2_PKS4_PKT4_PKT5_llS7_PT6_ll16rocsparse_order_21rocsparse_index_base_b,"axG",@progbits,_ZN9rocsparseL29bsrmmnt_small_blockdim_kernelILj64ELj32ELj2Ell21rocsparse_complex_numIdES2_S2_S2_EEv20rocsparse_direction_T3_S4_llNS_24const_host_device_scalarIT7_EEPKT2_PKS4_PKT4_PKT5_llS7_PT6_ll16rocsparse_order_21rocsparse_index_base_b,comdat
.Lfunc_end67:
	.size	_ZN9rocsparseL29bsrmmnt_small_blockdim_kernelILj64ELj32ELj2Ell21rocsparse_complex_numIdES2_S2_S2_EEv20rocsparse_direction_T3_S4_llNS_24const_host_device_scalarIT7_EEPKT2_PKS4_PKT4_PKT5_llS7_PT6_ll16rocsparse_order_21rocsparse_index_base_b, .Lfunc_end67-_ZN9rocsparseL29bsrmmnt_small_blockdim_kernelILj64ELj32ELj2Ell21rocsparse_complex_numIdES2_S2_S2_EEv20rocsparse_direction_T3_S4_llNS_24const_host_device_scalarIT7_EEPKT2_PKS4_PKT4_PKT5_llS7_PT6_ll16rocsparse_order_21rocsparse_index_base_b
                                        ; -- End function
	.set _ZN9rocsparseL29bsrmmnt_small_blockdim_kernelILj64ELj32ELj2Ell21rocsparse_complex_numIdES2_S2_S2_EEv20rocsparse_direction_T3_S4_llNS_24const_host_device_scalarIT7_EEPKT2_PKS4_PKT4_PKT5_llS7_PT6_ll16rocsparse_order_21rocsparse_index_base_b.num_vgpr, 61
	.set _ZN9rocsparseL29bsrmmnt_small_blockdim_kernelILj64ELj32ELj2Ell21rocsparse_complex_numIdES2_S2_S2_EEv20rocsparse_direction_T3_S4_llNS_24const_host_device_scalarIT7_EEPKT2_PKS4_PKT4_PKT5_llS7_PT6_ll16rocsparse_order_21rocsparse_index_base_b.num_agpr, 0
	.set _ZN9rocsparseL29bsrmmnt_small_blockdim_kernelILj64ELj32ELj2Ell21rocsparse_complex_numIdES2_S2_S2_EEv20rocsparse_direction_T3_S4_llNS_24const_host_device_scalarIT7_EEPKT2_PKS4_PKT4_PKT5_llS7_PT6_ll16rocsparse_order_21rocsparse_index_base_b.numbered_sgpr, 32
	.set _ZN9rocsparseL29bsrmmnt_small_blockdim_kernelILj64ELj32ELj2Ell21rocsparse_complex_numIdES2_S2_S2_EEv20rocsparse_direction_T3_S4_llNS_24const_host_device_scalarIT7_EEPKT2_PKS4_PKT4_PKT5_llS7_PT6_ll16rocsparse_order_21rocsparse_index_base_b.num_named_barrier, 0
	.set _ZN9rocsparseL29bsrmmnt_small_blockdim_kernelILj64ELj32ELj2Ell21rocsparse_complex_numIdES2_S2_S2_EEv20rocsparse_direction_T3_S4_llNS_24const_host_device_scalarIT7_EEPKT2_PKS4_PKT4_PKT5_llS7_PT6_ll16rocsparse_order_21rocsparse_index_base_b.private_seg_size, 0
	.set _ZN9rocsparseL29bsrmmnt_small_blockdim_kernelILj64ELj32ELj2Ell21rocsparse_complex_numIdES2_S2_S2_EEv20rocsparse_direction_T3_S4_llNS_24const_host_device_scalarIT7_EEPKT2_PKS4_PKT4_PKT5_llS7_PT6_ll16rocsparse_order_21rocsparse_index_base_b.uses_vcc, 1
	.set _ZN9rocsparseL29bsrmmnt_small_blockdim_kernelILj64ELj32ELj2Ell21rocsparse_complex_numIdES2_S2_S2_EEv20rocsparse_direction_T3_S4_llNS_24const_host_device_scalarIT7_EEPKT2_PKS4_PKT4_PKT5_llS7_PT6_ll16rocsparse_order_21rocsparse_index_base_b.uses_flat_scratch, 0
	.set _ZN9rocsparseL29bsrmmnt_small_blockdim_kernelILj64ELj32ELj2Ell21rocsparse_complex_numIdES2_S2_S2_EEv20rocsparse_direction_T3_S4_llNS_24const_host_device_scalarIT7_EEPKT2_PKS4_PKT4_PKT5_llS7_PT6_ll16rocsparse_order_21rocsparse_index_base_b.has_dyn_sized_stack, 0
	.set _ZN9rocsparseL29bsrmmnt_small_blockdim_kernelILj64ELj32ELj2Ell21rocsparse_complex_numIdES2_S2_S2_EEv20rocsparse_direction_T3_S4_llNS_24const_host_device_scalarIT7_EEPKT2_PKS4_PKT4_PKT5_llS7_PT6_ll16rocsparse_order_21rocsparse_index_base_b.has_recursion, 0
	.set _ZN9rocsparseL29bsrmmnt_small_blockdim_kernelILj64ELj32ELj2Ell21rocsparse_complex_numIdES2_S2_S2_EEv20rocsparse_direction_T3_S4_llNS_24const_host_device_scalarIT7_EEPKT2_PKS4_PKT4_PKT5_llS7_PT6_ll16rocsparse_order_21rocsparse_index_base_b.has_indirect_call, 0
	.section	.AMDGPU.csdata,"",@progbits
; Kernel info:
; codeLenInByte = 1816
; TotalNumSgprs: 36
; NumVgprs: 61
; ScratchSize: 0
; MemoryBound: 0
; FloatMode: 240
; IeeeMode: 1
; LDSByteSize: 3584 bytes/workgroup (compile time only)
; SGPRBlocks: 12
; VGPRBlocks: 15
; NumSGPRsForWavesPerEU: 102
; NumVGPRsForWavesPerEU: 61
; Occupancy: 4
; WaveLimiterHint : 1
; COMPUTE_PGM_RSRC2:SCRATCH_EN: 0
; COMPUTE_PGM_RSRC2:USER_SGPR: 6
; COMPUTE_PGM_RSRC2:TRAP_HANDLER: 0
; COMPUTE_PGM_RSRC2:TGID_X_EN: 1
; COMPUTE_PGM_RSRC2:TGID_Y_EN: 0
; COMPUTE_PGM_RSRC2:TGID_Z_EN: 0
; COMPUTE_PGM_RSRC2:TIDIG_COMP_CNT: 0
	.section	.text._ZN9rocsparseL29bsrmmnt_small_blockdim_kernelILj64ELj64ELj2Ell21rocsparse_complex_numIdES2_S2_S2_EEv20rocsparse_direction_T3_S4_llNS_24const_host_device_scalarIT7_EEPKT2_PKS4_PKT4_PKT5_llS7_PT6_ll16rocsparse_order_21rocsparse_index_base_b,"axG",@progbits,_ZN9rocsparseL29bsrmmnt_small_blockdim_kernelILj64ELj64ELj2Ell21rocsparse_complex_numIdES2_S2_S2_EEv20rocsparse_direction_T3_S4_llNS_24const_host_device_scalarIT7_EEPKT2_PKS4_PKT4_PKT5_llS7_PT6_ll16rocsparse_order_21rocsparse_index_base_b,comdat
	.globl	_ZN9rocsparseL29bsrmmnt_small_blockdim_kernelILj64ELj64ELj2Ell21rocsparse_complex_numIdES2_S2_S2_EEv20rocsparse_direction_T3_S4_llNS_24const_host_device_scalarIT7_EEPKT2_PKS4_PKT4_PKT5_llS7_PT6_ll16rocsparse_order_21rocsparse_index_base_b ; -- Begin function _ZN9rocsparseL29bsrmmnt_small_blockdim_kernelILj64ELj64ELj2Ell21rocsparse_complex_numIdES2_S2_S2_EEv20rocsparse_direction_T3_S4_llNS_24const_host_device_scalarIT7_EEPKT2_PKS4_PKT4_PKT5_llS7_PT6_ll16rocsparse_order_21rocsparse_index_base_b
	.p2align	8
	.type	_ZN9rocsparseL29bsrmmnt_small_blockdim_kernelILj64ELj64ELj2Ell21rocsparse_complex_numIdES2_S2_S2_EEv20rocsparse_direction_T3_S4_llNS_24const_host_device_scalarIT7_EEPKT2_PKS4_PKT4_PKT5_llS7_PT6_ll16rocsparse_order_21rocsparse_index_base_b,@function
_ZN9rocsparseL29bsrmmnt_small_blockdim_kernelILj64ELj64ELj2Ell21rocsparse_complex_numIdES2_S2_S2_EEv20rocsparse_direction_T3_S4_llNS_24const_host_device_scalarIT7_EEPKT2_PKS4_PKT4_PKT5_llS7_PT6_ll16rocsparse_order_21rocsparse_index_base_b: ; @_ZN9rocsparseL29bsrmmnt_small_blockdim_kernelILj64ELj64ELj2Ell21rocsparse_complex_numIdES2_S2_S2_EEv20rocsparse_direction_T3_S4_llNS_24const_host_device_scalarIT7_EEPKT2_PKS4_PKT4_PKT5_llS7_PT6_ll16rocsparse_order_21rocsparse_index_base_b
; %bb.0:
	s_load_dwordx2 s[0:1], s[4:5], 0x28
	s_load_dwordx4 s[24:27], s[4:5], 0x90
	s_add_u32 s7, s4, 40
	s_addc_u32 s8, s5, 0
	s_add_u32 s9, s4, 0x68
	s_addc_u32 s10, s5, 0
	s_waitcnt lgkmcnt(0)
	s_bitcmp1_b32 s26, 0
	s_cselect_b32 s1, s8, s1
	s_cselect_b32 s0, s7, s0
	v_mov_b32_e32 v1, s0
	v_mov_b32_e32 v2, s1
	flat_load_dwordx4 v[1:4], v[1:2]
	s_load_dwordx2 s[2:3], s[4:5], 0x68
	s_waitcnt lgkmcnt(0)
	s_cselect_b32 s0, s10, s3
	s_cselect_b32 s1, s9, s2
	v_mov_b32_e32 v5, s1
	v_mov_b32_e32 v6, s0
	flat_load_dwordx4 v[5:8], v[5:6]
	s_waitcnt vmcnt(0)
	v_cmp_eq_f64_e32 vcc, 0, v[1:2]
	v_cmp_eq_f64_e64 s[0:1], 0, v[3:4]
	s_and_b64 s[8:9], vcc, s[0:1]
	s_mov_b64 s[0:1], -1
	s_and_saveexec_b64 s[2:3], s[8:9]
	s_cbranch_execz .LBB68_2
; %bb.1:
	s_waitcnt lgkmcnt(0)
	v_cmp_neq_f64_e32 vcc, 1.0, v[5:6]
	v_cmp_neq_f64_e64 s[0:1], 0, v[7:8]
	s_or_b64 s[0:1], vcc, s[0:1]
	s_orn2_b64 s[0:1], s[0:1], exec
.LBB68_2:
	s_or_b64 exec, exec, s[2:3]
	s_and_saveexec_b64 s[2:3], s[0:1]
	s_cbranch_execz .LBB68_27
; %bb.3:
	s_load_dword s0, s[4:5], 0xac
	s_load_dwordx4 s[16:19], s[4:5], 0x8
	v_mov_b32_e32 v10, 0
	s_waitcnt lgkmcnt(0)
	s_and_b32 s0, s0, 0xffff
	s_mul_i32 s6, s6, s0
	v_add_u32_e32 v11, s6, v0
	v_lshrrev_b32_e32 v9, 7, v11
	v_cmp_gt_i64_e32 vcc, s[16:17], v[9:10]
	s_and_b64 exec, exec, vcc
	s_cbranch_execz .LBB68_27
; %bb.4:
	v_cmp_lt_i64_e64 s[0:1], s[18:19], 1
	s_and_b64 vcc, exec, s[0:1]
	s_cbranch_vccnz .LBB68_27
; %bb.5:
	s_load_dwordx8 s[8:15], s[4:5], 0x38
	v_lshlrev_b32_e32 v9, 3, v9
	v_cmp_neq_f64_e32 vcc, 0, v[5:6]
	v_cmp_neq_f64_e64 s[0:1], 0, v[7:8]
	v_lshrrev_b32_e32 v11, 6, v11
	s_waitcnt lgkmcnt(0)
	global_load_dwordx4 v[12:15], v9, s[8:9]
	s_load_dword s16, s[4:5], 0x0
	s_load_dwordx4 s[20:23], s[4:5], 0x78
	s_load_dwordx2 s[6:7], s[4:5], 0x58
	v_lshlrev_b32_e32 v16, 4, v11
	v_and_b32_e32 v17, 16, v16
	v_mov_b32_e32 v18, s13
	s_waitcnt lgkmcnt(0)
	v_mad_u64_u32 v[9:10], s[2:3], v11, s22, 0
	v_add_co_u32_e64 v21, s[2:3], s12, v17
	s_or_b64 s[8:9], vcc, s[0:1]
	v_mad_u64_u32 v[10:11], s[0:1], v11, s23, v[10:11]
	v_addc_co_u32_e64 v18, s[2:3], 0, v18, s[2:3]
	v_mov_b32_e32 v20, s21
	v_add_co_u32_e64 v36, s[2:3], s20, v16
	v_addc_co_u32_e64 v37, s[2:3], 0, v20, s[2:3]
	s_cmp_lg_u32 s24, 1
	v_add_co_u32_e64 v16, s[2:3], v21, v17
	s_cselect_b64 s[12:13], -1, 0
	s_cmp_eq_u32 s16, 0
	v_lshlrev_b64 v[9:10], 4, v[9:10]
	v_addc_co_u32_e64 v17, s[2:3], 0, v18, s[2:3]
	s_cselect_b64 vcc, -1, 0
	v_mov_b32_e32 v19, s21
	v_cndmask_b32_e32 v38, v18, v17, vcc
	v_cndmask_b32_e32 v39, v21, v16, vcc
	s_and_b64 s[0:1], vcc, exec
	v_add_co_u32_e32 v40, vcc, s20, v9
	v_addc_co_u32_e32 v41, vcc, v19, v10, vcc
	v_mov_b32_e32 v33, 0xc00
	s_mov_b32 s28, s25
	s_mov_b64 s[4:5], 0
	v_mul_u32_u24_e32 v34, 48, v0
	v_lshl_or_b32 v35, v0, 3, v33
	s_cselect_b32 s29, 16, 32
	s_cselect_b32 s30, 24, 40
	s_lshl_b64 s[16:17], s[6:7], 4
	s_waitcnt vmcnt(0)
	v_subrev_co_u32_e32 v17, vcc, s25, v12
	v_subbrev_co_u32_e32 v18, vcc, 0, v13, vcc
	v_subrev_co_u32_e32 v19, vcc, s25, v14
	v_cmp_lt_i64_e64 s[0:1], v[12:13], v[14:15]
	v_subbrev_co_u32_e32 v20, vcc, 0, v15, vcc
	s_branch .LBB68_7
.LBB68_6:                               ;   in Loop: Header=BB68_7 Depth=1
	s_or_b64 exec, exec, s[2:3]
	s_add_u32 s4, s4, 64
	v_mov_b32_e32 v9, s18
	s_addc_u32 s5, s5, 0
	v_mov_b32_e32 v10, s19
	v_cmp_lt_i64_e32 vcc, s[4:5], v[9:10]
	s_cbranch_vccz .LBB68_27
.LBB68_7:                               ; =>This Loop Header: Depth=1
                                        ;     Child Loop BB68_10 Depth 2
                                        ;       Child Loop BB68_14 Depth 3
	v_mov_b32_e32 v23, 0
	v_mov_b32_e32 v25, 0
	v_mov_b32_e32 v22, s5
	v_mov_b32_e32 v24, 0
	v_mov_b32_e32 v26, 0
	v_or_b32_e32 v21, s4, v0
	s_and_saveexec_b64 s[20:21], s[0:1]
	s_cbranch_execz .LBB68_16
; %bb.8:                                ;   in Loop: Header=BB68_7 Depth=1
	v_lshlrev_b64 v[9:10], 4, v[21:22]
	v_cmp_gt_i64_e32 vcc, s[18:19], v[21:22]
	v_mov_b32_e32 v11, s15
	v_add_co_u32_e64 v42, s[2:3], s14, v9
	v_mov_b32_e32 v23, 0
	v_mov_b32_e32 v25, 0
	;; [unrolled: 1-line block ×3, first 2 shown]
	v_addc_co_u32_e64 v43, s[2:3], v11, v10, s[2:3]
	v_mov_b32_e32 v24, 0
	s_mov_b64 s[24:25], 0
	v_mov_b32_e32 v26, 0
	v_mov_b32_e32 v27, v17
	s_branch .LBB68_10
.LBB68_9:                               ;   in Loop: Header=BB68_10 Depth=2
	s_or_b64 exec, exec, s[26:27]
	v_add_co_u32_e64 v27, s[2:3], 64, v27
	v_addc_co_u32_e64 v28, s[2:3], 0, v28, s[2:3]
	v_cmp_ge_i64_e64 s[2:3], v[27:28], v[19:20]
	s_or_b64 s[24:25], s[2:3], s[24:25]
	s_andn2_b64 exec, exec, s[24:25]
	s_cbranch_execz .LBB68_15
.LBB68_10:                              ;   Parent Loop BB68_7 Depth=1
                                        ; =>  This Loop Header: Depth=2
                                        ;       Child Loop BB68_14 Depth 3
	v_add_co_u32_e64 v29, s[2:3], v27, v0
	v_addc_co_u32_e64 v30, s[2:3], 0, v28, s[2:3]
	v_cmp_lt_i64_e64 s[2:3], v[29:30], v[19:20]
	v_mov_b32_e32 v31, 0
	v_mov_b32_e32 v13, 0
	;; [unrolled: 1-line block ×10, first 2 shown]
	s_and_saveexec_b64 s[26:27], s[2:3]
	s_cbranch_execz .LBB68_12
; %bb.11:                               ;   in Loop: Header=BB68_10 Depth=2
	v_lshlrev_b64 v[9:10], 3, v[29:30]
	v_mov_b32_e32 v11, s11
	v_add_co_u32_e64 v9, s[2:3], s10, v9
	v_addc_co_u32_e64 v10, s[2:3], v11, v10, s[2:3]
	global_load_dwordx2 v[31:32], v[9:10], off
	v_lshlrev_b64 v[9:10], 6, v[29:30]
	v_add_co_u32_e64 v29, s[2:3], v39, v9
	v_addc_co_u32_e64 v30, s[2:3], v38, v10, s[2:3]
	v_add_co_u32_e64 v44, s[2:3], s29, v29
	v_addc_co_u32_e64 v45, s[2:3], 0, v30, s[2:3]
	;; [unrolled: 2-line block ×3, first 2 shown]
	global_load_dwordx4 v[13:16], v[29:30], off
	global_load_dwordx2 v[9:10], v[44:45], off
	global_load_dwordx2 v[11:12], v[46:47], off
	s_waitcnt vmcnt(3)
	v_subrev_co_u32_e64 v29, s[2:3], s28, v31
	v_subbrev_co_u32_e64 v30, s[2:3], 0, v32, s[2:3]
	v_lshlrev_b64 v[31:32], 1, v[29:30]
.LBB68_12:                              ;   in Loop: Header=BB68_10 Depth=2
	s_or_b64 exec, exec, s[26:27]
	ds_write_b64 v35, v[31:32]
	s_waitcnt vmcnt(2)
	ds_write_b128 v34, v[13:16]
	s_waitcnt vmcnt(0)
	ds_write_b128 v34, v[9:12] offset:16
	s_waitcnt lgkmcnt(0)
	; wave barrier
	s_and_saveexec_b64 s[26:27], vcc
	s_cbranch_execz .LBB68_9
; %bb.13:                               ;   in Loop: Header=BB68_10 Depth=2
	s_mov_b32 s31, 0
	v_mov_b32_e32 v9, 0
.LBB68_14:                              ;   Parent Loop BB68_7 Depth=1
                                        ;     Parent Loop BB68_10 Depth=2
                                        ; =>    This Inner Loop Header: Depth=3
	v_add_u32_e32 v10, s31, v33
	ds_read_b128 v[10:13], v10
	v_mov_b32_e32 v16, s17
	s_add_i32 s31, s31, 16
	s_cmpk_lg_i32 s31, 0x200
	s_waitcnt lgkmcnt(0)
	v_mul_lo_u32 v14, v11, s6
	v_mul_lo_u32 v15, v10, s7
	v_mad_u64_u32 v[10:11], s[2:3], v10, s6, 0
	v_mul_lo_u32 v13, v13, s6
	v_add3_u32 v11, v11, v15, v14
	v_lshlrev_b64 v[10:11], 4, v[10:11]
	v_mul_lo_u32 v14, v12, s7
	v_add_co_u32_e64 v10, s[2:3], v42, v10
	v_addc_co_u32_e64 v11, s[2:3], v43, v11, s[2:3]
	global_load_dwordx4 v[29:32], v[10:11], off
	v_add_co_u32_e64 v10, s[2:3], s16, v10
	v_addc_co_u32_e64 v11, s[2:3], v11, v16, s[2:3]
	global_load_dwordx4 v[44:47], v[10:11], off
	v_mad_u64_u32 v[10:11], s[2:3], v12, s6, 0
	v_add3_u32 v11, v11, v14, v13
	v_lshlrev_b64 v[10:11], 4, v[10:11]
	v_add_co_u32_e64 v14, s[2:3], v42, v10
	v_addc_co_u32_e64 v15, s[2:3], v43, v11, s[2:3]
	global_load_dwordx4 v[10:13], v[14:15], off
	v_add_co_u32_e64 v14, s[2:3], s16, v14
	v_addc_co_u32_e64 v15, s[2:3], v15, v16, s[2:3]
	global_load_dwordx4 v[48:51], v[14:15], off
	ds_read_b128 v[52:55], v9
	ds_read_b128 v[56:59], v9 offset:16
	s_waitcnt vmcnt(3) lgkmcnt(1)
	v_fma_f64 v[14:15], v[52:53], v[29:30], v[25:26]
	v_fma_f64 v[23:24], v[54:55], v[29:30], v[23:24]
	v_fma_f64 v[14:15], -v[54:55], v[31:32], v[14:15]
	v_fma_f64 v[23:24], v[52:53], v[31:32], v[23:24]
	s_waitcnt vmcnt(2) lgkmcnt(0)
	v_fma_f64 v[14:15], v[56:57], v[44:45], v[14:15]
	v_fma_f64 v[23:24], v[58:59], v[44:45], v[23:24]
	v_fma_f64 v[14:15], -v[58:59], v[46:47], v[14:15]
	v_fma_f64 v[44:45], v[56:57], v[46:47], v[23:24]
	ds_read_b128 v[23:26], v9 offset:48
	ds_read_b128 v[29:32], v9 offset:64
	v_add_u32_e32 v9, 0x60, v9
	s_waitcnt vmcnt(1) lgkmcnt(1)
	v_fma_f64 v[14:15], v[23:24], v[10:11], v[14:15]
	v_fma_f64 v[10:11], v[25:26], v[10:11], v[44:45]
	v_fma_f64 v[14:15], -v[25:26], v[12:13], v[14:15]
	v_fma_f64 v[10:11], v[23:24], v[12:13], v[10:11]
	s_waitcnt vmcnt(0) lgkmcnt(0)
	v_fma_f64 v[12:13], v[29:30], v[48:49], v[14:15]
	v_fma_f64 v[10:11], v[31:32], v[48:49], v[10:11]
	v_fma_f64 v[25:26], -v[31:32], v[50:51], v[12:13]
	v_fma_f64 v[23:24], v[29:30], v[50:51], v[10:11]
	s_cbranch_scc1 .LBB68_14
	s_branch .LBB68_9
.LBB68_15:                              ;   in Loop: Header=BB68_7 Depth=1
	s_or_b64 exec, exec, s[24:25]
.LBB68_16:                              ;   in Loop: Header=BB68_7 Depth=1
	s_or_b64 exec, exec, s[20:21]
	v_cmp_gt_i64_e32 vcc, s[18:19], v[21:22]
	s_and_saveexec_b64 s[2:3], vcc
	s_cbranch_execz .LBB68_6
; %bb.17:                               ;   in Loop: Header=BB68_7 Depth=1
	s_and_saveexec_b64 s[20:21], s[8:9]
	s_xor_b64 s[20:21], exec, s[20:21]
	s_cbranch_execz .LBB68_22
; %bb.18:                               ;   in Loop: Header=BB68_7 Depth=1
	s_mov_b64 s[24:25], -1
	s_and_b64 vcc, exec, s[12:13]
	s_cbranch_vccz .LBB68_20
; %bb.19:                               ;   in Loop: Header=BB68_7 Depth=1
	v_lshlrev_b64 v[9:10], 4, v[21:22]
	v_mul_f64 v[15:16], v[23:24], -v[3:4]
	v_add_co_u32_e32 v13, vcc, v40, v9
	v_addc_co_u32_e32 v14, vcc, v41, v10, vcc
	global_load_dwordx4 v[9:12], v[13:14], off
	v_mul_f64 v[27:28], v[1:2], v[23:24]
	s_mov_b64 s[24:25], 0
	v_fma_f64 v[15:16], v[1:2], v[25:26], v[15:16]
	v_fma_f64 v[27:28], v[3:4], v[25:26], v[27:28]
	s_waitcnt vmcnt(0)
	v_fma_f64 v[15:16], v[5:6], v[9:10], v[15:16]
	v_fma_f64 v[27:28], v[7:8], v[9:10], v[27:28]
	v_fma_f64 v[9:10], -v[7:8], v[11:12], v[15:16]
	v_fma_f64 v[11:12], v[5:6], v[11:12], v[27:28]
	global_store_dwordx4 v[13:14], v[9:12], off
.LBB68_20:                              ;   in Loop: Header=BB68_7 Depth=1
	s_andn2_b64 vcc, exec, s[24:25]
	s_cbranch_vccnz .LBB68_22
; %bb.21:                               ;   in Loop: Header=BB68_7 Depth=1
	v_mul_lo_u32 v11, v22, s22
	v_mul_lo_u32 v12, v21, s23
	v_mad_u64_u32 v[9:10], s[24:25], v21, s22, 0
	v_mul_f64 v[15:16], v[23:24], -v[3:4]
	v_mul_f64 v[21:22], v[1:2], v[23:24]
	v_add3_u32 v10, v10, v12, v11
	v_lshlrev_b64 v[9:10], 4, v[9:10]
                                        ; implicit-def: $vgpr23_vgpr24
	v_add_co_u32_e32 v13, vcc, v36, v9
	v_addc_co_u32_e32 v14, vcc, v37, v10, vcc
	global_load_dwordx4 v[9:12], v[13:14], off
	v_fma_f64 v[15:16], v[1:2], v[25:26], v[15:16]
	v_fma_f64 v[21:22], v[3:4], v[25:26], v[21:22]
                                        ; implicit-def: $vgpr25_vgpr26
	s_waitcnt vmcnt(0)
	v_fma_f64 v[15:16], v[5:6], v[9:10], v[15:16]
	v_fma_f64 v[21:22], v[7:8], v[9:10], v[21:22]
	v_fma_f64 v[9:10], -v[7:8], v[11:12], v[15:16]
	v_fma_f64 v[11:12], v[5:6], v[11:12], v[21:22]
                                        ; implicit-def: $vgpr21_vgpr22
	global_store_dwordx4 v[13:14], v[9:12], off
.LBB68_22:                              ;   in Loop: Header=BB68_7 Depth=1
	s_andn2_saveexec_b64 s[20:21], s[20:21]
	s_cbranch_execz .LBB68_6
; %bb.23:                               ;   in Loop: Header=BB68_7 Depth=1
	v_mul_f64 v[9:10], v[23:24], -v[3:4]
	v_mul_f64 v[11:12], v[1:2], v[23:24]
	s_mov_b64 s[20:21], -1
	s_and_b64 vcc, exec, s[12:13]
	v_fma_f64 v[9:10], v[1:2], v[25:26], v[9:10]
	v_fma_f64 v[11:12], v[3:4], v[25:26], v[11:12]
	s_cbranch_vccz .LBB68_25
; %bb.24:                               ;   in Loop: Header=BB68_7 Depth=1
	v_lshlrev_b64 v[13:14], 4, v[21:22]
	s_mov_b64 s[20:21], 0
	v_add_co_u32_e32 v13, vcc, v40, v13
	v_addc_co_u32_e32 v14, vcc, v41, v14, vcc
	global_store_dwordx4 v[13:14], v[9:12], off
.LBB68_25:                              ;   in Loop: Header=BB68_7 Depth=1
	s_andn2_b64 vcc, exec, s[20:21]
	s_cbranch_vccnz .LBB68_6
; %bb.26:                               ;   in Loop: Header=BB68_7 Depth=1
	v_mul_lo_u32 v15, v22, s22
	v_mul_lo_u32 v16, v21, s23
	v_mad_u64_u32 v[13:14], s[20:21], v21, s22, 0
	v_add3_u32 v14, v14, v16, v15
	v_lshlrev_b64 v[13:14], 4, v[13:14]
	v_add_co_u32_e32 v13, vcc, v36, v13
	v_addc_co_u32_e32 v14, vcc, v37, v14, vcc
	global_store_dwordx4 v[13:14], v[9:12], off
	s_branch .LBB68_6
.LBB68_27:
	s_endpgm
	.section	.rodata,"a",@progbits
	.p2align	6, 0x0
	.amdhsa_kernel _ZN9rocsparseL29bsrmmnt_small_blockdim_kernelILj64ELj64ELj2Ell21rocsparse_complex_numIdES2_S2_S2_EEv20rocsparse_direction_T3_S4_llNS_24const_host_device_scalarIT7_EEPKT2_PKS4_PKT4_PKT5_llS7_PT6_ll16rocsparse_order_21rocsparse_index_base_b
		.amdhsa_group_segment_fixed_size 3584
		.amdhsa_private_segment_fixed_size 0
		.amdhsa_kernarg_size 416
		.amdhsa_user_sgpr_count 6
		.amdhsa_user_sgpr_private_segment_buffer 1
		.amdhsa_user_sgpr_dispatch_ptr 0
		.amdhsa_user_sgpr_queue_ptr 0
		.amdhsa_user_sgpr_kernarg_segment_ptr 1
		.amdhsa_user_sgpr_dispatch_id 0
		.amdhsa_user_sgpr_flat_scratch_init 0
		.amdhsa_user_sgpr_private_segment_size 0
		.amdhsa_uses_dynamic_stack 0
		.amdhsa_system_sgpr_private_segment_wavefront_offset 0
		.amdhsa_system_sgpr_workgroup_id_x 1
		.amdhsa_system_sgpr_workgroup_id_y 0
		.amdhsa_system_sgpr_workgroup_id_z 0
		.amdhsa_system_sgpr_workgroup_info 0
		.amdhsa_system_vgpr_workitem_id 0
		.amdhsa_next_free_vgpr 60
		.amdhsa_next_free_sgpr 98
		.amdhsa_reserve_vcc 1
		.amdhsa_reserve_flat_scratch 0
		.amdhsa_float_round_mode_32 0
		.amdhsa_float_round_mode_16_64 0
		.amdhsa_float_denorm_mode_32 3
		.amdhsa_float_denorm_mode_16_64 3
		.amdhsa_dx10_clamp 1
		.amdhsa_ieee_mode 1
		.amdhsa_fp16_overflow 0
		.amdhsa_exception_fp_ieee_invalid_op 0
		.amdhsa_exception_fp_denorm_src 0
		.amdhsa_exception_fp_ieee_div_zero 0
		.amdhsa_exception_fp_ieee_overflow 0
		.amdhsa_exception_fp_ieee_underflow 0
		.amdhsa_exception_fp_ieee_inexact 0
		.amdhsa_exception_int_div_zero 0
	.end_amdhsa_kernel
	.section	.text._ZN9rocsparseL29bsrmmnt_small_blockdim_kernelILj64ELj64ELj2Ell21rocsparse_complex_numIdES2_S2_S2_EEv20rocsparse_direction_T3_S4_llNS_24const_host_device_scalarIT7_EEPKT2_PKS4_PKT4_PKT5_llS7_PT6_ll16rocsparse_order_21rocsparse_index_base_b,"axG",@progbits,_ZN9rocsparseL29bsrmmnt_small_blockdim_kernelILj64ELj64ELj2Ell21rocsparse_complex_numIdES2_S2_S2_EEv20rocsparse_direction_T3_S4_llNS_24const_host_device_scalarIT7_EEPKT2_PKS4_PKT4_PKT5_llS7_PT6_ll16rocsparse_order_21rocsparse_index_base_b,comdat
.Lfunc_end68:
	.size	_ZN9rocsparseL29bsrmmnt_small_blockdim_kernelILj64ELj64ELj2Ell21rocsparse_complex_numIdES2_S2_S2_EEv20rocsparse_direction_T3_S4_llNS_24const_host_device_scalarIT7_EEPKT2_PKS4_PKT4_PKT5_llS7_PT6_ll16rocsparse_order_21rocsparse_index_base_b, .Lfunc_end68-_ZN9rocsparseL29bsrmmnt_small_blockdim_kernelILj64ELj64ELj2Ell21rocsparse_complex_numIdES2_S2_S2_EEv20rocsparse_direction_T3_S4_llNS_24const_host_device_scalarIT7_EEPKT2_PKS4_PKT4_PKT5_llS7_PT6_ll16rocsparse_order_21rocsparse_index_base_b
                                        ; -- End function
	.set _ZN9rocsparseL29bsrmmnt_small_blockdim_kernelILj64ELj64ELj2Ell21rocsparse_complex_numIdES2_S2_S2_EEv20rocsparse_direction_T3_S4_llNS_24const_host_device_scalarIT7_EEPKT2_PKS4_PKT4_PKT5_llS7_PT6_ll16rocsparse_order_21rocsparse_index_base_b.num_vgpr, 60
	.set _ZN9rocsparseL29bsrmmnt_small_blockdim_kernelILj64ELj64ELj2Ell21rocsparse_complex_numIdES2_S2_S2_EEv20rocsparse_direction_T3_S4_llNS_24const_host_device_scalarIT7_EEPKT2_PKS4_PKT4_PKT5_llS7_PT6_ll16rocsparse_order_21rocsparse_index_base_b.num_agpr, 0
	.set _ZN9rocsparseL29bsrmmnt_small_blockdim_kernelILj64ELj64ELj2Ell21rocsparse_complex_numIdES2_S2_S2_EEv20rocsparse_direction_T3_S4_llNS_24const_host_device_scalarIT7_EEPKT2_PKS4_PKT4_PKT5_llS7_PT6_ll16rocsparse_order_21rocsparse_index_base_b.numbered_sgpr, 32
	.set _ZN9rocsparseL29bsrmmnt_small_blockdim_kernelILj64ELj64ELj2Ell21rocsparse_complex_numIdES2_S2_S2_EEv20rocsparse_direction_T3_S4_llNS_24const_host_device_scalarIT7_EEPKT2_PKS4_PKT4_PKT5_llS7_PT6_ll16rocsparse_order_21rocsparse_index_base_b.num_named_barrier, 0
	.set _ZN9rocsparseL29bsrmmnt_small_blockdim_kernelILj64ELj64ELj2Ell21rocsparse_complex_numIdES2_S2_S2_EEv20rocsparse_direction_T3_S4_llNS_24const_host_device_scalarIT7_EEPKT2_PKS4_PKT4_PKT5_llS7_PT6_ll16rocsparse_order_21rocsparse_index_base_b.private_seg_size, 0
	.set _ZN9rocsparseL29bsrmmnt_small_blockdim_kernelILj64ELj64ELj2Ell21rocsparse_complex_numIdES2_S2_S2_EEv20rocsparse_direction_T3_S4_llNS_24const_host_device_scalarIT7_EEPKT2_PKS4_PKT4_PKT5_llS7_PT6_ll16rocsparse_order_21rocsparse_index_base_b.uses_vcc, 1
	.set _ZN9rocsparseL29bsrmmnt_small_blockdim_kernelILj64ELj64ELj2Ell21rocsparse_complex_numIdES2_S2_S2_EEv20rocsparse_direction_T3_S4_llNS_24const_host_device_scalarIT7_EEPKT2_PKS4_PKT4_PKT5_llS7_PT6_ll16rocsparse_order_21rocsparse_index_base_b.uses_flat_scratch, 0
	.set _ZN9rocsparseL29bsrmmnt_small_blockdim_kernelILj64ELj64ELj2Ell21rocsparse_complex_numIdES2_S2_S2_EEv20rocsparse_direction_T3_S4_llNS_24const_host_device_scalarIT7_EEPKT2_PKS4_PKT4_PKT5_llS7_PT6_ll16rocsparse_order_21rocsparse_index_base_b.has_dyn_sized_stack, 0
	.set _ZN9rocsparseL29bsrmmnt_small_blockdim_kernelILj64ELj64ELj2Ell21rocsparse_complex_numIdES2_S2_S2_EEv20rocsparse_direction_T3_S4_llNS_24const_host_device_scalarIT7_EEPKT2_PKS4_PKT4_PKT5_llS7_PT6_ll16rocsparse_order_21rocsparse_index_base_b.has_recursion, 0
	.set _ZN9rocsparseL29bsrmmnt_small_blockdim_kernelILj64ELj64ELj2Ell21rocsparse_complex_numIdES2_S2_S2_EEv20rocsparse_direction_T3_S4_llNS_24const_host_device_scalarIT7_EEPKT2_PKS4_PKT4_PKT5_llS7_PT6_ll16rocsparse_order_21rocsparse_index_base_b.has_indirect_call, 0
	.section	.AMDGPU.csdata,"",@progbits
; Kernel info:
; codeLenInByte = 1788
; TotalNumSgprs: 36
; NumVgprs: 60
; ScratchSize: 0
; MemoryBound: 0
; FloatMode: 240
; IeeeMode: 1
; LDSByteSize: 3584 bytes/workgroup (compile time only)
; SGPRBlocks: 12
; VGPRBlocks: 14
; NumSGPRsForWavesPerEU: 102
; NumVGPRsForWavesPerEU: 60
; Occupancy: 4
; WaveLimiterHint : 1
; COMPUTE_PGM_RSRC2:SCRATCH_EN: 0
; COMPUTE_PGM_RSRC2:USER_SGPR: 6
; COMPUTE_PGM_RSRC2:TRAP_HANDLER: 0
; COMPUTE_PGM_RSRC2:TGID_X_EN: 1
; COMPUTE_PGM_RSRC2:TGID_Y_EN: 0
; COMPUTE_PGM_RSRC2:TGID_Z_EN: 0
; COMPUTE_PGM_RSRC2:TIDIG_COMP_CNT: 0
	.section	.text._ZN9rocsparseL29bsrmmnt_small_blockdim_kernelILj64ELj8ELj2EiiDF16_DF16_ffEEv20rocsparse_direction_T3_S2_llNS_24const_host_device_scalarIT7_EEPKT2_PKS2_PKT4_PKT5_llS5_PT6_ll16rocsparse_order_21rocsparse_index_base_b,"axG",@progbits,_ZN9rocsparseL29bsrmmnt_small_blockdim_kernelILj64ELj8ELj2EiiDF16_DF16_ffEEv20rocsparse_direction_T3_S2_llNS_24const_host_device_scalarIT7_EEPKT2_PKS2_PKT4_PKT5_llS5_PT6_ll16rocsparse_order_21rocsparse_index_base_b,comdat
	.globl	_ZN9rocsparseL29bsrmmnt_small_blockdim_kernelILj64ELj8ELj2EiiDF16_DF16_ffEEv20rocsparse_direction_T3_S2_llNS_24const_host_device_scalarIT7_EEPKT2_PKS2_PKT4_PKT5_llS5_PT6_ll16rocsparse_order_21rocsparse_index_base_b ; -- Begin function _ZN9rocsparseL29bsrmmnt_small_blockdim_kernelILj64ELj8ELj2EiiDF16_DF16_ffEEv20rocsparse_direction_T3_S2_llNS_24const_host_device_scalarIT7_EEPKT2_PKS2_PKT4_PKT5_llS5_PT6_ll16rocsparse_order_21rocsparse_index_base_b
	.p2align	8
	.type	_ZN9rocsparseL29bsrmmnt_small_blockdim_kernelILj64ELj8ELj2EiiDF16_DF16_ffEEv20rocsparse_direction_T3_S2_llNS_24const_host_device_scalarIT7_EEPKT2_PKS2_PKT4_PKT5_llS5_PT6_ll16rocsparse_order_21rocsparse_index_base_b,@function
_ZN9rocsparseL29bsrmmnt_small_blockdim_kernelILj64ELj8ELj2EiiDF16_DF16_ffEEv20rocsparse_direction_T3_S2_llNS_24const_host_device_scalarIT7_EEPKT2_PKS2_PKT4_PKT5_llS5_PT6_ll16rocsparse_order_21rocsparse_index_base_b: ; @_ZN9rocsparseL29bsrmmnt_small_blockdim_kernelILj64ELj8ELj2EiiDF16_DF16_ffEEv20rocsparse_direction_T3_S2_llNS_24const_host_device_scalarIT7_EEPKT2_PKS2_PKT4_PKT5_llS5_PT6_ll16rocsparse_order_21rocsparse_index_base_b
; %bb.0:
	s_load_dwordx4 s[16:19], s[4:5], 0x78
	s_load_dwordx2 s[28:29], s[4:5], 0x20
	s_load_dwordx2 s[30:31], s[4:5], 0x58
	s_waitcnt lgkmcnt(0)
	s_bitcmp1_b32 s18, 0
	s_cselect_b64 s[2:3], -1, 0
	s_xor_b64 s[0:1], s[2:3], -1
	s_and_b64 vcc, exec, s[2:3]
	s_cbranch_vccnz .LBB69_2
; %bb.1:
	s_load_dword s28, s[28:29], 0x0
.LBB69_2:
	s_andn2_b64 vcc, exec, s[0:1]
	s_cbranch_vccnz .LBB69_4
; %bb.3:
	s_load_dword s30, s[30:31], 0x0
.LBB69_4:
	s_waitcnt lgkmcnt(0)
	v_cmp_eq_f32_e64 s[0:1], s28, 0
	v_cmp_eq_f32_e64 s[2:3], s30, 1.0
	s_and_b64 s[0:1], s[0:1], s[2:3]
	s_and_b64 vcc, exec, s[0:1]
	s_cbranch_vccnz .LBB69_30
; %bb.5:
	s_load_dword s0, s[4:5], 0x94
	s_load_dwordx4 s[20:23], s[4:5], 0x0
	s_waitcnt lgkmcnt(0)
	s_and_b32 s0, s0, 0xffff
	s_mul_i32 s6, s6, s0
	v_add_u32_e32 v1, s6, v0
	v_lshrrev_b32_e32 v2, 4, v1
	v_cmp_gt_i32_e32 vcc, s21, v2
	s_and_saveexec_b64 s[0:1], vcc
	s_cbranch_execz .LBB69_30
; %bb.6:
	s_cmp_lt_i32 s22, 1
	s_cbranch_scc1 .LBB69_30
; %bb.7:
	s_load_dwordx8 s[8:15], s[4:5], 0x28
	v_lshlrev_b32_e32 v2, 2, v2
	v_bfe_u32 v4, v1, 3, 1
	v_and_b32_e32 v6, 7, v0
	v_lshrrev_b32_e32 v0, 3, v0
	s_waitcnt lgkmcnt(0)
	global_load_dwordx2 v[2:3], v2, s[8:9]
	s_load_dwordx4 s[24:27], s[4:5], 0x60
	s_load_dwordx2 s[6:7], s[4:5], 0x48
	v_mov_b32_e32 v5, 0x180
	s_cmp_eq_u32 s20, 0
	v_lshrrev_b32_e32 v12, 3, v1
	v_lshl_add_u32 v7, v0, 5, v5
	v_lshlrev_b32_e32 v5, 1, v4
	s_cselect_b64 vcc, -1, 0
	v_or_b32_e32 v11, 2, v4
	v_mul_u32_u24_e32 v8, 48, v0
	v_or_b32_e32 v0, 1, v5
	v_cndmask_b32_e32 v10, v4, v5, vcc
	s_waitcnt lgkmcnt(0)
	v_mad_u64_u32 v[4:5], s[0:1], s26, v12, 0
	v_mov_b32_e32 v1, 0
	v_cndmask_b32_e32 v11, v11, v0, vcc
	v_mov_b32_e32 v0, v5
	v_mad_u64_u32 v[14:15], s[0:1], s27, v12, v[0:1]
	v_lshlrev_b32_e32 v13, 2, v12
	v_mov_b32_e32 v17, s25
	v_mov_b32_e32 v5, v14
	v_add_co_u32_e32 v12, vcc, s24, v13
	v_lshlrev_b64 v[4:5], 2, v[4:5]
	v_addc_co_u32_e32 v13, vcc, 0, v17, vcc
	v_mul_u32_u24_e32 v18, 6, v6
	s_cmp_lg_u32 s16, 1
	v_mov_b32_e32 v16, s25
	v_add_co_u32_e32 v14, vcc, s24, v4
	s_mov_b32 s23, 0
	v_cmp_neq_f32_e64 s[4:5], s30, 0
	v_lshl_or_b32 v9, v6, 2, v7
	s_cselect_b64 s[8:9], -1, 0
	v_addc_co_u32_e32 v15, vcc, v16, v5, vcc
	v_add_u32_e32 v18, v8, v18
	s_waitcnt vmcnt(0)
	v_subrev_u32_e32 v16, s17, v2
	v_subrev_u32_e32 v17, s17, v3
	v_cmp_lt_i32_e64 s[0:1], v2, v3
	s_branch .LBB69_9
.LBB69_8:                               ;   in Loop: Header=BB69_9 Depth=1
	s_or_b64 exec, exec, s[2:3]
	s_add_i32 s23, s23, 8
	s_cmp_lt_i32 s23, s22
	s_cbranch_scc0 .LBB69_30
.LBB69_9:                               ; =>This Loop Header: Depth=1
                                        ;     Child Loop BB69_12 Depth 2
                                        ;       Child Loop BB69_16 Depth 3
	v_or_b32_e32 v2, s23, v6
	v_ashrrev_i32_e32 v3, 31, v2
	v_mov_b32_e32 v22, v1
	s_and_saveexec_b64 s[18:19], s[0:1]
	s_cbranch_execz .LBB69_18
; %bb.10:                               ;   in Loop: Header=BB69_9 Depth=1
	v_lshlrev_b64 v[4:5], 1, v[2:3]
	v_mov_b32_e32 v0, s15
	v_add_co_u32_e64 v19, s[2:3], s14, v4
	v_cmp_gt_i32_e32 vcc, s22, v2
	v_addc_co_u32_e64 v20, s[2:3], v0, v5, s[2:3]
	v_mov_b32_e32 v22, 0
	s_mov_b64 s[20:21], 0
	v_mov_b32_e32 v21, v16
	s_branch .LBB69_12
.LBB69_11:                              ;   in Loop: Header=BB69_12 Depth=2
	s_or_b64 exec, exec, s[24:25]
	v_add_u32_e32 v21, 8, v21
	v_cmp_ge_i32_e64 s[2:3], v21, v17
	s_or_b64 s[20:21], s[2:3], s[20:21]
	s_andn2_b64 exec, exec, s[20:21]
	s_cbranch_execz .LBB69_17
.LBB69_12:                              ;   Parent Loop BB69_9 Depth=1
                                        ; =>  This Loop Header: Depth=2
                                        ;       Child Loop BB69_16 Depth 3
	v_add_u32_e32 v4, v21, v6
	v_cmp_lt_i32_e64 s[2:3], v4, v17
	v_mov_b32_e32 v23, 0
	v_mov_b32_e32 v0, 0
	;; [unrolled: 1-line block ×3, first 2 shown]
	s_and_saveexec_b64 s[24:25], s[2:3]
	s_cbranch_execz .LBB69_14
; %bb.13:                               ;   in Loop: Header=BB69_12 Depth=2
	v_ashrrev_i32_e32 v5, 31, v4
	v_lshlrev_b64 v[23:24], 2, v[4:5]
	v_mov_b32_e32 v0, s11
	v_add_co_u32_e64 v23, s[2:3], s10, v23
	v_lshlrev_b32_e32 v25, 2, v4
	v_addc_co_u32_e64 v24, s[2:3], v0, v24, s[2:3]
	v_or_b32_e32 v0, v25, v10
	v_lshlrev_b64 v[4:5], 1, v[0:1]
	global_load_dword v27, v[23:24], off
	v_mov_b32_e32 v0, s13
	v_add_co_u32_e64 v23, s[2:3], s12, v4
	v_addc_co_u32_e64 v24, s[2:3], v0, v5, s[2:3]
	v_or_b32_e32 v0, v25, v11
	v_lshlrev_b64 v[4:5], 1, v[0:1]
	v_mov_b32_e32 v0, s13
	v_add_co_u32_e64 v25, s[2:3], s12, v4
	v_addc_co_u32_e64 v26, s[2:3], v0, v5, s[2:3]
	global_load_ushort v0, v[23:24], off
	global_load_ushort v5, v[25:26], off
	s_waitcnt vmcnt(2)
	v_subrev_u32_e32 v4, s17, v27
	v_lshlrev_b32_e32 v23, 1, v4
.LBB69_14:                              ;   in Loop: Header=BB69_12 Depth=2
	s_or_b64 exec, exec, s[24:25]
	ds_write_b32 v9, v23
	s_waitcnt vmcnt(1)
	ds_write_b16 v18, v0
	s_waitcnt vmcnt(0)
	ds_write_b16 v18, v5 offset:2
	s_waitcnt lgkmcnt(0)
	; wave barrier
	s_and_saveexec_b64 s[24:25], vcc
	s_cbranch_execz .LBB69_11
; %bb.15:                               ;   in Loop: Header=BB69_12 Depth=2
	s_mov_b32 s16, 0
	v_mov_b32_e32 v0, v8
.LBB69_16:                              ;   Parent Loop BB69_9 Depth=1
                                        ;     Parent Loop BB69_12 Depth=2
                                        ; =>    This Inner Loop Header: Depth=3
	v_add_u32_e32 v4, s16, v7
	ds_read_b64 v[4:5], v4
	s_add_i32 s16, s16, 8
	s_cmp_lg_u32 s16, 32
	s_waitcnt lgkmcnt(0)
	v_ashrrev_i32_e32 v23, 31, v4
	v_mul_lo_u32 v25, s6, v23
	v_mul_lo_u32 v26, s7, v4
	v_mad_u64_u32 v[23:24], s[2:3], s6, v4, 0
	v_add_u32_e32 v4, 1, v4
	v_mul_lo_u32 v29, s7, v4
	v_add3_u32 v24, v24, v25, v26
	v_lshlrev_b64 v[23:24], 1, v[23:24]
	v_add_co_u32_e64 v23, s[2:3], v19, v23
	v_addc_co_u32_e64 v24, s[2:3], v20, v24, s[2:3]
	global_load_ushort v23, v[23:24], off
	ds_read_b32 v24, v0
	ds_read_u16 v25, v0 offset:6
	ds_read_u16 v26, v0 offset:8
	v_add_u32_e32 v0, 12, v0
	s_waitcnt vmcnt(0) lgkmcnt(2)
	v_fma_mix_f32 v27, v24, v23, v22 op_sel_hi:[1,1,0]
	v_ashrrev_i32_e32 v22, 31, v4
	v_mul_lo_u32 v28, s6, v22
	v_mad_u64_u32 v[22:23], s[2:3], s6, v4, 0
	v_add3_u32 v23, v23, v28, v29
	v_lshlrev_b64 v[22:23], 1, v[22:23]
	v_add_co_u32_e64 v22, s[2:3], v19, v22
	v_addc_co_u32_e64 v23, s[2:3], v20, v23, s[2:3]
	global_load_ushort v4, v[22:23], off
	v_ashrrev_i32_e32 v22, 31, v5
	s_waitcnt vmcnt(0)
	v_fma_mix_f32 v4, v24, v4, v27 op_sel:[1,0,0] op_sel_hi:[1,1,0]
	v_mul_lo_u32 v24, s6, v22
	v_mul_lo_u32 v27, s7, v5
	v_mad_u64_u32 v[22:23], s[2:3], s6, v5, 0
	v_add3_u32 v23, v23, v24, v27
	v_lshlrev_b64 v[22:23], 1, v[22:23]
	v_add_co_u32_e64 v22, s[2:3], v19, v22
	v_addc_co_u32_e64 v23, s[2:3], v20, v23, s[2:3]
	global_load_ushort v22, v[22:23], off
	s_waitcnt vmcnt(0) lgkmcnt(1)
	v_fma_mix_f32 v22, v25, v22, v4 op_sel_hi:[1,1,0]
	v_add_u32_e32 v4, 1, v5
	v_ashrrev_i32_e32 v5, 31, v4
	v_mul_lo_u32 v23, s6, v5
	v_mul_lo_u32 v24, s7, v4
	v_mad_u64_u32 v[4:5], s[2:3], s6, v4, 0
	v_add3_u32 v5, v5, v23, v24
	v_lshlrev_b64 v[4:5], 1, v[4:5]
	v_add_co_u32_e64 v4, s[2:3], v19, v4
	v_addc_co_u32_e64 v5, s[2:3], v20, v5, s[2:3]
	global_load_ushort v4, v[4:5], off
	s_waitcnt vmcnt(0) lgkmcnt(0)
	v_fma_mix_f32 v22, v26, v4, v22 op_sel_hi:[1,1,0]
	s_cbranch_scc1 .LBB69_16
	s_branch .LBB69_11
.LBB69_17:                              ;   in Loop: Header=BB69_9 Depth=1
	s_or_b64 exec, exec, s[20:21]
.LBB69_18:                              ;   in Loop: Header=BB69_9 Depth=1
	s_or_b64 exec, exec, s[18:19]
	v_cmp_gt_i32_e32 vcc, s22, v2
	s_and_saveexec_b64 s[2:3], vcc
	s_cbranch_execz .LBB69_8
; %bb.19:                               ;   in Loop: Header=BB69_9 Depth=1
	s_mov_b64 s[18:19], -1
	s_and_b64 vcc, exec, s[4:5]
	s_cbranch_vccz .LBB69_25
; %bb.20:                               ;   in Loop: Header=BB69_9 Depth=1
	s_and_b64 vcc, exec, s[8:9]
	s_cbranch_vccz .LBB69_22
; %bb.21:                               ;   in Loop: Header=BB69_9 Depth=1
	v_lshlrev_b64 v[4:5], 2, v[2:3]
	v_mul_f32_e32 v19, s28, v22
	v_add_co_u32_e32 v4, vcc, v14, v4
	v_addc_co_u32_e32 v5, vcc, v15, v5, vcc
	global_load_dword v0, v[4:5], off
	s_mov_b64 s[18:19], 0
	s_waitcnt vmcnt(0)
	v_fmac_f32_e32 v19, s30, v0
	global_store_dword v[4:5], v19, off
.LBB69_22:                              ;   in Loop: Header=BB69_9 Depth=1
	s_andn2_b64 vcc, exec, s[18:19]
	s_cbranch_vccnz .LBB69_24
; %bb.23:                               ;   in Loop: Header=BB69_9 Depth=1
	v_mul_lo_u32 v0, s27, v2
	v_mul_lo_u32 v19, s26, v3
	v_mad_u64_u32 v[4:5], s[18:19], s26, v2, 0
	v_add3_u32 v5, v5, v19, v0
	v_lshlrev_b64 v[4:5], 2, v[4:5]
	v_mul_f32_e32 v19, s28, v22
	v_add_co_u32_e32 v4, vcc, v12, v4
	v_addc_co_u32_e32 v5, vcc, v13, v5, vcc
	global_load_dword v0, v[4:5], off
	s_waitcnt vmcnt(0)
	v_fmac_f32_e32 v19, s30, v0
	global_store_dword v[4:5], v19, off
.LBB69_24:                              ;   in Loop: Header=BB69_9 Depth=1
	s_mov_b64 s[18:19], 0
.LBB69_25:                              ;   in Loop: Header=BB69_9 Depth=1
	s_andn2_b64 vcc, exec, s[18:19]
	s_cbranch_vccnz .LBB69_8
; %bb.26:                               ;   in Loop: Header=BB69_9 Depth=1
	v_mul_f32_e32 v0, s28, v22
	s_mov_b64 s[18:19], -1
	s_and_b64 vcc, exec, s[8:9]
	s_cbranch_vccz .LBB69_28
; %bb.27:                               ;   in Loop: Header=BB69_9 Depth=1
	v_lshlrev_b64 v[4:5], 2, v[2:3]
	s_mov_b64 s[18:19], 0
	v_add_co_u32_e32 v4, vcc, v14, v4
	v_addc_co_u32_e32 v5, vcc, v15, v5, vcc
	global_store_dword v[4:5], v0, off
.LBB69_28:                              ;   in Loop: Header=BB69_9 Depth=1
	s_andn2_b64 vcc, exec, s[18:19]
	s_cbranch_vccnz .LBB69_8
; %bb.29:                               ;   in Loop: Header=BB69_9 Depth=1
	v_mul_lo_u32 v4, s27, v2
	v_mul_lo_u32 v5, s26, v3
	v_mad_u64_u32 v[2:3], s[18:19], s26, v2, 0
	v_add3_u32 v3, v3, v5, v4
	v_lshlrev_b64 v[2:3], 2, v[2:3]
	v_add_co_u32_e32 v2, vcc, v12, v2
	v_addc_co_u32_e32 v3, vcc, v13, v3, vcc
	global_store_dword v[2:3], v0, off
	s_branch .LBB69_8
.LBB69_30:
	s_endpgm
	.section	.rodata,"a",@progbits
	.p2align	6, 0x0
	.amdhsa_kernel _ZN9rocsparseL29bsrmmnt_small_blockdim_kernelILj64ELj8ELj2EiiDF16_DF16_ffEEv20rocsparse_direction_T3_S2_llNS_24const_host_device_scalarIT7_EEPKT2_PKS2_PKT4_PKT5_llS5_PT6_ll16rocsparse_order_21rocsparse_index_base_b
		.amdhsa_group_segment_fixed_size 640
		.amdhsa_private_segment_fixed_size 0
		.amdhsa_kernarg_size 392
		.amdhsa_user_sgpr_count 6
		.amdhsa_user_sgpr_private_segment_buffer 1
		.amdhsa_user_sgpr_dispatch_ptr 0
		.amdhsa_user_sgpr_queue_ptr 0
		.amdhsa_user_sgpr_kernarg_segment_ptr 1
		.amdhsa_user_sgpr_dispatch_id 0
		.amdhsa_user_sgpr_flat_scratch_init 0
		.amdhsa_user_sgpr_private_segment_size 0
		.amdhsa_uses_dynamic_stack 0
		.amdhsa_system_sgpr_private_segment_wavefront_offset 0
		.amdhsa_system_sgpr_workgroup_id_x 1
		.amdhsa_system_sgpr_workgroup_id_y 0
		.amdhsa_system_sgpr_workgroup_id_z 0
		.amdhsa_system_sgpr_workgroup_info 0
		.amdhsa_system_vgpr_workitem_id 0
		.amdhsa_next_free_vgpr 30
		.amdhsa_next_free_sgpr 32
		.amdhsa_reserve_vcc 1
		.amdhsa_reserve_flat_scratch 0
		.amdhsa_float_round_mode_32 0
		.amdhsa_float_round_mode_16_64 0
		.amdhsa_float_denorm_mode_32 3
		.amdhsa_float_denorm_mode_16_64 3
		.amdhsa_dx10_clamp 1
		.amdhsa_ieee_mode 1
		.amdhsa_fp16_overflow 0
		.amdhsa_exception_fp_ieee_invalid_op 0
		.amdhsa_exception_fp_denorm_src 0
		.amdhsa_exception_fp_ieee_div_zero 0
		.amdhsa_exception_fp_ieee_overflow 0
		.amdhsa_exception_fp_ieee_underflow 0
		.amdhsa_exception_fp_ieee_inexact 0
		.amdhsa_exception_int_div_zero 0
	.end_amdhsa_kernel
	.section	.text._ZN9rocsparseL29bsrmmnt_small_blockdim_kernelILj64ELj8ELj2EiiDF16_DF16_ffEEv20rocsparse_direction_T3_S2_llNS_24const_host_device_scalarIT7_EEPKT2_PKS2_PKT4_PKT5_llS5_PT6_ll16rocsparse_order_21rocsparse_index_base_b,"axG",@progbits,_ZN9rocsparseL29bsrmmnt_small_blockdim_kernelILj64ELj8ELj2EiiDF16_DF16_ffEEv20rocsparse_direction_T3_S2_llNS_24const_host_device_scalarIT7_EEPKT2_PKS2_PKT4_PKT5_llS5_PT6_ll16rocsparse_order_21rocsparse_index_base_b,comdat
.Lfunc_end69:
	.size	_ZN9rocsparseL29bsrmmnt_small_blockdim_kernelILj64ELj8ELj2EiiDF16_DF16_ffEEv20rocsparse_direction_T3_S2_llNS_24const_host_device_scalarIT7_EEPKT2_PKS2_PKT4_PKT5_llS5_PT6_ll16rocsparse_order_21rocsparse_index_base_b, .Lfunc_end69-_ZN9rocsparseL29bsrmmnt_small_blockdim_kernelILj64ELj8ELj2EiiDF16_DF16_ffEEv20rocsparse_direction_T3_S2_llNS_24const_host_device_scalarIT7_EEPKT2_PKS2_PKT4_PKT5_llS5_PT6_ll16rocsparse_order_21rocsparse_index_base_b
                                        ; -- End function
	.set _ZN9rocsparseL29bsrmmnt_small_blockdim_kernelILj64ELj8ELj2EiiDF16_DF16_ffEEv20rocsparse_direction_T3_S2_llNS_24const_host_device_scalarIT7_EEPKT2_PKS2_PKT4_PKT5_llS5_PT6_ll16rocsparse_order_21rocsparse_index_base_b.num_vgpr, 30
	.set _ZN9rocsparseL29bsrmmnt_small_blockdim_kernelILj64ELj8ELj2EiiDF16_DF16_ffEEv20rocsparse_direction_T3_S2_llNS_24const_host_device_scalarIT7_EEPKT2_PKS2_PKT4_PKT5_llS5_PT6_ll16rocsparse_order_21rocsparse_index_base_b.num_agpr, 0
	.set _ZN9rocsparseL29bsrmmnt_small_blockdim_kernelILj64ELj8ELj2EiiDF16_DF16_ffEEv20rocsparse_direction_T3_S2_llNS_24const_host_device_scalarIT7_EEPKT2_PKS2_PKT4_PKT5_llS5_PT6_ll16rocsparse_order_21rocsparse_index_base_b.numbered_sgpr, 32
	.set _ZN9rocsparseL29bsrmmnt_small_blockdim_kernelILj64ELj8ELj2EiiDF16_DF16_ffEEv20rocsparse_direction_T3_S2_llNS_24const_host_device_scalarIT7_EEPKT2_PKS2_PKT4_PKT5_llS5_PT6_ll16rocsparse_order_21rocsparse_index_base_b.num_named_barrier, 0
	.set _ZN9rocsparseL29bsrmmnt_small_blockdim_kernelILj64ELj8ELj2EiiDF16_DF16_ffEEv20rocsparse_direction_T3_S2_llNS_24const_host_device_scalarIT7_EEPKT2_PKS2_PKT4_PKT5_llS5_PT6_ll16rocsparse_order_21rocsparse_index_base_b.private_seg_size, 0
	.set _ZN9rocsparseL29bsrmmnt_small_blockdim_kernelILj64ELj8ELj2EiiDF16_DF16_ffEEv20rocsparse_direction_T3_S2_llNS_24const_host_device_scalarIT7_EEPKT2_PKS2_PKT4_PKT5_llS5_PT6_ll16rocsparse_order_21rocsparse_index_base_b.uses_vcc, 1
	.set _ZN9rocsparseL29bsrmmnt_small_blockdim_kernelILj64ELj8ELj2EiiDF16_DF16_ffEEv20rocsparse_direction_T3_S2_llNS_24const_host_device_scalarIT7_EEPKT2_PKS2_PKT4_PKT5_llS5_PT6_ll16rocsparse_order_21rocsparse_index_base_b.uses_flat_scratch, 0
	.set _ZN9rocsparseL29bsrmmnt_small_blockdim_kernelILj64ELj8ELj2EiiDF16_DF16_ffEEv20rocsparse_direction_T3_S2_llNS_24const_host_device_scalarIT7_EEPKT2_PKS2_PKT4_PKT5_llS5_PT6_ll16rocsparse_order_21rocsparse_index_base_b.has_dyn_sized_stack, 0
	.set _ZN9rocsparseL29bsrmmnt_small_blockdim_kernelILj64ELj8ELj2EiiDF16_DF16_ffEEv20rocsparse_direction_T3_S2_llNS_24const_host_device_scalarIT7_EEPKT2_PKS2_PKT4_PKT5_llS5_PT6_ll16rocsparse_order_21rocsparse_index_base_b.has_recursion, 0
	.set _ZN9rocsparseL29bsrmmnt_small_blockdim_kernelILj64ELj8ELj2EiiDF16_DF16_ffEEv20rocsparse_direction_T3_S2_llNS_24const_host_device_scalarIT7_EEPKT2_PKS2_PKT4_PKT5_llS5_PT6_ll16rocsparse_order_21rocsparse_index_base_b.has_indirect_call, 0
	.section	.AMDGPU.csdata,"",@progbits
; Kernel info:
; codeLenInByte = 1424
; TotalNumSgprs: 36
; NumVgprs: 30
; ScratchSize: 0
; MemoryBound: 0
; FloatMode: 240
; IeeeMode: 1
; LDSByteSize: 640 bytes/workgroup (compile time only)
; SGPRBlocks: 4
; VGPRBlocks: 7
; NumSGPRsForWavesPerEU: 36
; NumVGPRsForWavesPerEU: 30
; Occupancy: 8
; WaveLimiterHint : 0
; COMPUTE_PGM_RSRC2:SCRATCH_EN: 0
; COMPUTE_PGM_RSRC2:USER_SGPR: 6
; COMPUTE_PGM_RSRC2:TRAP_HANDLER: 0
; COMPUTE_PGM_RSRC2:TGID_X_EN: 1
; COMPUTE_PGM_RSRC2:TGID_Y_EN: 0
; COMPUTE_PGM_RSRC2:TGID_Z_EN: 0
; COMPUTE_PGM_RSRC2:TIDIG_COMP_CNT: 0
	.section	.text._ZN9rocsparseL29bsrmmnt_small_blockdim_kernelILj64ELj16ELj2EiiDF16_DF16_ffEEv20rocsparse_direction_T3_S2_llNS_24const_host_device_scalarIT7_EEPKT2_PKS2_PKT4_PKT5_llS5_PT6_ll16rocsparse_order_21rocsparse_index_base_b,"axG",@progbits,_ZN9rocsparseL29bsrmmnt_small_blockdim_kernelILj64ELj16ELj2EiiDF16_DF16_ffEEv20rocsparse_direction_T3_S2_llNS_24const_host_device_scalarIT7_EEPKT2_PKS2_PKT4_PKT5_llS5_PT6_ll16rocsparse_order_21rocsparse_index_base_b,comdat
	.globl	_ZN9rocsparseL29bsrmmnt_small_blockdim_kernelILj64ELj16ELj2EiiDF16_DF16_ffEEv20rocsparse_direction_T3_S2_llNS_24const_host_device_scalarIT7_EEPKT2_PKS2_PKT4_PKT5_llS5_PT6_ll16rocsparse_order_21rocsparse_index_base_b ; -- Begin function _ZN9rocsparseL29bsrmmnt_small_blockdim_kernelILj64ELj16ELj2EiiDF16_DF16_ffEEv20rocsparse_direction_T3_S2_llNS_24const_host_device_scalarIT7_EEPKT2_PKS2_PKT4_PKT5_llS5_PT6_ll16rocsparse_order_21rocsparse_index_base_b
	.p2align	8
	.type	_ZN9rocsparseL29bsrmmnt_small_blockdim_kernelILj64ELj16ELj2EiiDF16_DF16_ffEEv20rocsparse_direction_T3_S2_llNS_24const_host_device_scalarIT7_EEPKT2_PKS2_PKT4_PKT5_llS5_PT6_ll16rocsparse_order_21rocsparse_index_base_b,@function
_ZN9rocsparseL29bsrmmnt_small_blockdim_kernelILj64ELj16ELj2EiiDF16_DF16_ffEEv20rocsparse_direction_T3_S2_llNS_24const_host_device_scalarIT7_EEPKT2_PKS2_PKT4_PKT5_llS5_PT6_ll16rocsparse_order_21rocsparse_index_base_b: ; @_ZN9rocsparseL29bsrmmnt_small_blockdim_kernelILj64ELj16ELj2EiiDF16_DF16_ffEEv20rocsparse_direction_T3_S2_llNS_24const_host_device_scalarIT7_EEPKT2_PKS2_PKT4_PKT5_llS5_PT6_ll16rocsparse_order_21rocsparse_index_base_b
; %bb.0:
	s_load_dwordx4 s[16:19], s[4:5], 0x78
	s_load_dwordx2 s[28:29], s[4:5], 0x20
	s_load_dwordx2 s[30:31], s[4:5], 0x58
	s_waitcnt lgkmcnt(0)
	s_bitcmp1_b32 s18, 0
	s_cselect_b64 s[2:3], -1, 0
	s_xor_b64 s[0:1], s[2:3], -1
	s_and_b64 vcc, exec, s[2:3]
	s_cbranch_vccnz .LBB70_2
; %bb.1:
	s_load_dword s28, s[28:29], 0x0
.LBB70_2:
	s_andn2_b64 vcc, exec, s[0:1]
	s_cbranch_vccnz .LBB70_4
; %bb.3:
	s_load_dword s30, s[30:31], 0x0
.LBB70_4:
	s_waitcnt lgkmcnt(0)
	v_cmp_eq_f32_e64 s[0:1], s28, 0
	v_cmp_eq_f32_e64 s[2:3], s30, 1.0
	s_and_b64 s[0:1], s[0:1], s[2:3]
	s_and_b64 vcc, exec, s[0:1]
	s_cbranch_vccnz .LBB70_30
; %bb.5:
	s_load_dword s0, s[4:5], 0x94
	s_load_dwordx4 s[20:23], s[4:5], 0x0
	s_waitcnt lgkmcnt(0)
	s_and_b32 s0, s0, 0xffff
	s_mul_i32 s6, s6, s0
	v_add_u32_e32 v1, s6, v0
	v_lshrrev_b32_e32 v2, 5, v1
	v_cmp_gt_i32_e32 vcc, s21, v2
	s_and_saveexec_b64 s[0:1], vcc
	s_cbranch_execz .LBB70_30
; %bb.6:
	s_cmp_lt_i32 s22, 1
	s_cbranch_scc1 .LBB70_30
; %bb.7:
	s_load_dwordx8 s[8:15], s[4:5], 0x28
	v_lshlrev_b32_e32 v2, 2, v2
	v_bfe_u32 v4, v1, 4, 1
	v_and_b32_e32 v6, 15, v0
	v_lshrrev_b32_e32 v0, 4, v0
	s_waitcnt lgkmcnt(0)
	global_load_dwordx2 v[2:3], v2, s[8:9]
	s_load_dwordx4 s[24:27], s[4:5], 0x60
	s_load_dwordx2 s[6:7], s[4:5], 0x48
	v_mov_b32_e32 v5, 0x180
	s_cmp_eq_u32 s20, 0
	v_lshrrev_b32_e32 v12, 4, v1
	v_lshl_add_u32 v7, v0, 6, v5
	v_lshlrev_b32_e32 v5, 1, v4
	s_cselect_b64 vcc, -1, 0
	v_or_b32_e32 v11, 2, v4
	v_mul_u32_u24_e32 v8, 0x60, v0
	v_or_b32_e32 v0, 1, v5
	v_cndmask_b32_e32 v10, v4, v5, vcc
	s_waitcnt lgkmcnt(0)
	v_mad_u64_u32 v[4:5], s[0:1], s26, v12, 0
	v_mov_b32_e32 v1, 0
	v_cndmask_b32_e32 v11, v11, v0, vcc
	v_mov_b32_e32 v0, v5
	v_mad_u64_u32 v[14:15], s[0:1], s27, v12, v[0:1]
	v_lshlrev_b32_e32 v13, 2, v12
	v_mov_b32_e32 v17, s25
	v_mov_b32_e32 v5, v14
	v_add_co_u32_e32 v12, vcc, s24, v13
	v_lshlrev_b64 v[4:5], 2, v[4:5]
	v_addc_co_u32_e32 v13, vcc, 0, v17, vcc
	v_mul_u32_u24_e32 v18, 6, v6
	s_cmp_lg_u32 s16, 1
	v_mov_b32_e32 v16, s25
	v_add_co_u32_e32 v14, vcc, s24, v4
	s_mov_b32 s23, 0
	v_cmp_neq_f32_e64 s[4:5], s30, 0
	v_lshl_or_b32 v9, v6, 2, v7
	s_cselect_b64 s[8:9], -1, 0
	v_addc_co_u32_e32 v15, vcc, v16, v5, vcc
	v_add_u32_e32 v18, v8, v18
	s_waitcnt vmcnt(0)
	v_subrev_u32_e32 v16, s17, v2
	v_subrev_u32_e32 v17, s17, v3
	v_cmp_lt_i32_e64 s[0:1], v2, v3
	s_branch .LBB70_9
.LBB70_8:                               ;   in Loop: Header=BB70_9 Depth=1
	s_or_b64 exec, exec, s[2:3]
	s_add_i32 s23, s23, 16
	s_cmp_lt_i32 s23, s22
	s_cbranch_scc0 .LBB70_30
.LBB70_9:                               ; =>This Loop Header: Depth=1
                                        ;     Child Loop BB70_12 Depth 2
                                        ;       Child Loop BB70_16 Depth 3
	v_or_b32_e32 v2, s23, v6
	v_ashrrev_i32_e32 v3, 31, v2
	v_mov_b32_e32 v22, v1
	s_and_saveexec_b64 s[18:19], s[0:1]
	s_cbranch_execz .LBB70_18
; %bb.10:                               ;   in Loop: Header=BB70_9 Depth=1
	v_lshlrev_b64 v[4:5], 1, v[2:3]
	v_mov_b32_e32 v0, s15
	v_add_co_u32_e64 v19, s[2:3], s14, v4
	v_cmp_gt_i32_e32 vcc, s22, v2
	v_addc_co_u32_e64 v20, s[2:3], v0, v5, s[2:3]
	v_mov_b32_e32 v22, 0
	s_mov_b64 s[20:21], 0
	v_mov_b32_e32 v21, v16
	s_branch .LBB70_12
.LBB70_11:                              ;   in Loop: Header=BB70_12 Depth=2
	s_or_b64 exec, exec, s[24:25]
	v_add_u32_e32 v21, 16, v21
	v_cmp_ge_i32_e64 s[2:3], v21, v17
	s_or_b64 s[20:21], s[2:3], s[20:21]
	s_andn2_b64 exec, exec, s[20:21]
	s_cbranch_execz .LBB70_17
.LBB70_12:                              ;   Parent Loop BB70_9 Depth=1
                                        ; =>  This Loop Header: Depth=2
                                        ;       Child Loop BB70_16 Depth 3
	v_add_u32_e32 v4, v21, v6
	v_cmp_lt_i32_e64 s[2:3], v4, v17
	v_mov_b32_e32 v23, 0
	v_mov_b32_e32 v0, 0
	;; [unrolled: 1-line block ×3, first 2 shown]
	s_and_saveexec_b64 s[24:25], s[2:3]
	s_cbranch_execz .LBB70_14
; %bb.13:                               ;   in Loop: Header=BB70_12 Depth=2
	v_ashrrev_i32_e32 v5, 31, v4
	v_lshlrev_b64 v[23:24], 2, v[4:5]
	v_mov_b32_e32 v0, s11
	v_add_co_u32_e64 v23, s[2:3], s10, v23
	v_lshlrev_b32_e32 v25, 2, v4
	v_addc_co_u32_e64 v24, s[2:3], v0, v24, s[2:3]
	v_or_b32_e32 v0, v25, v10
	v_lshlrev_b64 v[4:5], 1, v[0:1]
	global_load_dword v27, v[23:24], off
	v_mov_b32_e32 v0, s13
	v_add_co_u32_e64 v23, s[2:3], s12, v4
	v_addc_co_u32_e64 v24, s[2:3], v0, v5, s[2:3]
	v_or_b32_e32 v0, v25, v11
	v_lshlrev_b64 v[4:5], 1, v[0:1]
	v_mov_b32_e32 v0, s13
	v_add_co_u32_e64 v25, s[2:3], s12, v4
	v_addc_co_u32_e64 v26, s[2:3], v0, v5, s[2:3]
	global_load_ushort v0, v[23:24], off
	global_load_ushort v5, v[25:26], off
	s_waitcnt vmcnt(2)
	v_subrev_u32_e32 v4, s17, v27
	v_lshlrev_b32_e32 v23, 1, v4
.LBB70_14:                              ;   in Loop: Header=BB70_12 Depth=2
	s_or_b64 exec, exec, s[24:25]
	ds_write_b32 v9, v23
	s_waitcnt vmcnt(1)
	ds_write_b16 v18, v0
	s_waitcnt vmcnt(0)
	ds_write_b16 v18, v5 offset:2
	s_waitcnt lgkmcnt(0)
	; wave barrier
	s_and_saveexec_b64 s[24:25], vcc
	s_cbranch_execz .LBB70_11
; %bb.15:                               ;   in Loop: Header=BB70_12 Depth=2
	s_mov_b32 s16, 0
	v_mov_b32_e32 v0, v8
.LBB70_16:                              ;   Parent Loop BB70_9 Depth=1
                                        ;     Parent Loop BB70_12 Depth=2
                                        ; =>    This Inner Loop Header: Depth=3
	v_add_u32_e32 v4, s16, v7
	ds_read_b64 v[4:5], v4
	s_add_i32 s16, s16, 8
	s_cmp_lg_u32 s16, 64
	s_waitcnt lgkmcnt(0)
	v_ashrrev_i32_e32 v23, 31, v4
	v_mul_lo_u32 v25, s6, v23
	v_mul_lo_u32 v26, s7, v4
	v_mad_u64_u32 v[23:24], s[2:3], s6, v4, 0
	v_add_u32_e32 v4, 1, v4
	v_mul_lo_u32 v29, s7, v4
	v_add3_u32 v24, v24, v25, v26
	v_lshlrev_b64 v[23:24], 1, v[23:24]
	v_add_co_u32_e64 v23, s[2:3], v19, v23
	v_addc_co_u32_e64 v24, s[2:3], v20, v24, s[2:3]
	global_load_ushort v23, v[23:24], off
	ds_read_b32 v24, v0
	ds_read_u16 v25, v0 offset:6
	ds_read_u16 v26, v0 offset:8
	v_add_u32_e32 v0, 12, v0
	s_waitcnt vmcnt(0) lgkmcnt(2)
	v_fma_mix_f32 v27, v24, v23, v22 op_sel_hi:[1,1,0]
	v_ashrrev_i32_e32 v22, 31, v4
	v_mul_lo_u32 v28, s6, v22
	v_mad_u64_u32 v[22:23], s[2:3], s6, v4, 0
	v_add3_u32 v23, v23, v28, v29
	v_lshlrev_b64 v[22:23], 1, v[22:23]
	v_add_co_u32_e64 v22, s[2:3], v19, v22
	v_addc_co_u32_e64 v23, s[2:3], v20, v23, s[2:3]
	global_load_ushort v4, v[22:23], off
	v_ashrrev_i32_e32 v22, 31, v5
	s_waitcnt vmcnt(0)
	v_fma_mix_f32 v4, v24, v4, v27 op_sel:[1,0,0] op_sel_hi:[1,1,0]
	v_mul_lo_u32 v24, s6, v22
	v_mul_lo_u32 v27, s7, v5
	v_mad_u64_u32 v[22:23], s[2:3], s6, v5, 0
	v_add3_u32 v23, v23, v24, v27
	v_lshlrev_b64 v[22:23], 1, v[22:23]
	v_add_co_u32_e64 v22, s[2:3], v19, v22
	v_addc_co_u32_e64 v23, s[2:3], v20, v23, s[2:3]
	global_load_ushort v22, v[22:23], off
	s_waitcnt vmcnt(0) lgkmcnt(1)
	v_fma_mix_f32 v22, v25, v22, v4 op_sel_hi:[1,1,0]
	v_add_u32_e32 v4, 1, v5
	v_ashrrev_i32_e32 v5, 31, v4
	v_mul_lo_u32 v23, s6, v5
	v_mul_lo_u32 v24, s7, v4
	v_mad_u64_u32 v[4:5], s[2:3], s6, v4, 0
	v_add3_u32 v5, v5, v23, v24
	v_lshlrev_b64 v[4:5], 1, v[4:5]
	v_add_co_u32_e64 v4, s[2:3], v19, v4
	v_addc_co_u32_e64 v5, s[2:3], v20, v5, s[2:3]
	global_load_ushort v4, v[4:5], off
	s_waitcnt vmcnt(0) lgkmcnt(0)
	v_fma_mix_f32 v22, v26, v4, v22 op_sel_hi:[1,1,0]
	s_cbranch_scc1 .LBB70_16
	s_branch .LBB70_11
.LBB70_17:                              ;   in Loop: Header=BB70_9 Depth=1
	s_or_b64 exec, exec, s[20:21]
.LBB70_18:                              ;   in Loop: Header=BB70_9 Depth=1
	s_or_b64 exec, exec, s[18:19]
	v_cmp_gt_i32_e32 vcc, s22, v2
	s_and_saveexec_b64 s[2:3], vcc
	s_cbranch_execz .LBB70_8
; %bb.19:                               ;   in Loop: Header=BB70_9 Depth=1
	s_mov_b64 s[18:19], -1
	s_and_b64 vcc, exec, s[4:5]
	s_cbranch_vccz .LBB70_25
; %bb.20:                               ;   in Loop: Header=BB70_9 Depth=1
	s_and_b64 vcc, exec, s[8:9]
	s_cbranch_vccz .LBB70_22
; %bb.21:                               ;   in Loop: Header=BB70_9 Depth=1
	v_lshlrev_b64 v[4:5], 2, v[2:3]
	v_mul_f32_e32 v19, s28, v22
	v_add_co_u32_e32 v4, vcc, v14, v4
	v_addc_co_u32_e32 v5, vcc, v15, v5, vcc
	global_load_dword v0, v[4:5], off
	s_mov_b64 s[18:19], 0
	s_waitcnt vmcnt(0)
	v_fmac_f32_e32 v19, s30, v0
	global_store_dword v[4:5], v19, off
.LBB70_22:                              ;   in Loop: Header=BB70_9 Depth=1
	s_andn2_b64 vcc, exec, s[18:19]
	s_cbranch_vccnz .LBB70_24
; %bb.23:                               ;   in Loop: Header=BB70_9 Depth=1
	v_mul_lo_u32 v0, s27, v2
	v_mul_lo_u32 v19, s26, v3
	v_mad_u64_u32 v[4:5], s[18:19], s26, v2, 0
	v_add3_u32 v5, v5, v19, v0
	v_lshlrev_b64 v[4:5], 2, v[4:5]
	v_mul_f32_e32 v19, s28, v22
	v_add_co_u32_e32 v4, vcc, v12, v4
	v_addc_co_u32_e32 v5, vcc, v13, v5, vcc
	global_load_dword v0, v[4:5], off
	s_waitcnt vmcnt(0)
	v_fmac_f32_e32 v19, s30, v0
	global_store_dword v[4:5], v19, off
.LBB70_24:                              ;   in Loop: Header=BB70_9 Depth=1
	s_mov_b64 s[18:19], 0
.LBB70_25:                              ;   in Loop: Header=BB70_9 Depth=1
	s_andn2_b64 vcc, exec, s[18:19]
	s_cbranch_vccnz .LBB70_8
; %bb.26:                               ;   in Loop: Header=BB70_9 Depth=1
	v_mul_f32_e32 v0, s28, v22
	s_mov_b64 s[18:19], -1
	s_and_b64 vcc, exec, s[8:9]
	s_cbranch_vccz .LBB70_28
; %bb.27:                               ;   in Loop: Header=BB70_9 Depth=1
	v_lshlrev_b64 v[4:5], 2, v[2:3]
	s_mov_b64 s[18:19], 0
	v_add_co_u32_e32 v4, vcc, v14, v4
	v_addc_co_u32_e32 v5, vcc, v15, v5, vcc
	global_store_dword v[4:5], v0, off
.LBB70_28:                              ;   in Loop: Header=BB70_9 Depth=1
	s_andn2_b64 vcc, exec, s[18:19]
	s_cbranch_vccnz .LBB70_8
; %bb.29:                               ;   in Loop: Header=BB70_9 Depth=1
	v_mul_lo_u32 v4, s27, v2
	v_mul_lo_u32 v5, s26, v3
	v_mad_u64_u32 v[2:3], s[18:19], s26, v2, 0
	v_add3_u32 v3, v3, v5, v4
	v_lshlrev_b64 v[2:3], 2, v[2:3]
	v_add_co_u32_e32 v2, vcc, v12, v2
	v_addc_co_u32_e32 v3, vcc, v13, v3, vcc
	global_store_dword v[2:3], v0, off
	s_branch .LBB70_8
.LBB70_30:
	s_endpgm
	.section	.rodata,"a",@progbits
	.p2align	6, 0x0
	.amdhsa_kernel _ZN9rocsparseL29bsrmmnt_small_blockdim_kernelILj64ELj16ELj2EiiDF16_DF16_ffEEv20rocsparse_direction_T3_S2_llNS_24const_host_device_scalarIT7_EEPKT2_PKS2_PKT4_PKT5_llS5_PT6_ll16rocsparse_order_21rocsparse_index_base_b
		.amdhsa_group_segment_fixed_size 640
		.amdhsa_private_segment_fixed_size 0
		.amdhsa_kernarg_size 392
		.amdhsa_user_sgpr_count 6
		.amdhsa_user_sgpr_private_segment_buffer 1
		.amdhsa_user_sgpr_dispatch_ptr 0
		.amdhsa_user_sgpr_queue_ptr 0
		.amdhsa_user_sgpr_kernarg_segment_ptr 1
		.amdhsa_user_sgpr_dispatch_id 0
		.amdhsa_user_sgpr_flat_scratch_init 0
		.amdhsa_user_sgpr_private_segment_size 0
		.amdhsa_uses_dynamic_stack 0
		.amdhsa_system_sgpr_private_segment_wavefront_offset 0
		.amdhsa_system_sgpr_workgroup_id_x 1
		.amdhsa_system_sgpr_workgroup_id_y 0
		.amdhsa_system_sgpr_workgroup_id_z 0
		.amdhsa_system_sgpr_workgroup_info 0
		.amdhsa_system_vgpr_workitem_id 0
		.amdhsa_next_free_vgpr 30
		.amdhsa_next_free_sgpr 32
		.amdhsa_reserve_vcc 1
		.amdhsa_reserve_flat_scratch 0
		.amdhsa_float_round_mode_32 0
		.amdhsa_float_round_mode_16_64 0
		.amdhsa_float_denorm_mode_32 3
		.amdhsa_float_denorm_mode_16_64 3
		.amdhsa_dx10_clamp 1
		.amdhsa_ieee_mode 1
		.amdhsa_fp16_overflow 0
		.amdhsa_exception_fp_ieee_invalid_op 0
		.amdhsa_exception_fp_denorm_src 0
		.amdhsa_exception_fp_ieee_div_zero 0
		.amdhsa_exception_fp_ieee_overflow 0
		.amdhsa_exception_fp_ieee_underflow 0
		.amdhsa_exception_fp_ieee_inexact 0
		.amdhsa_exception_int_div_zero 0
	.end_amdhsa_kernel
	.section	.text._ZN9rocsparseL29bsrmmnt_small_blockdim_kernelILj64ELj16ELj2EiiDF16_DF16_ffEEv20rocsparse_direction_T3_S2_llNS_24const_host_device_scalarIT7_EEPKT2_PKS2_PKT4_PKT5_llS5_PT6_ll16rocsparse_order_21rocsparse_index_base_b,"axG",@progbits,_ZN9rocsparseL29bsrmmnt_small_blockdim_kernelILj64ELj16ELj2EiiDF16_DF16_ffEEv20rocsparse_direction_T3_S2_llNS_24const_host_device_scalarIT7_EEPKT2_PKS2_PKT4_PKT5_llS5_PT6_ll16rocsparse_order_21rocsparse_index_base_b,comdat
.Lfunc_end70:
	.size	_ZN9rocsparseL29bsrmmnt_small_blockdim_kernelILj64ELj16ELj2EiiDF16_DF16_ffEEv20rocsparse_direction_T3_S2_llNS_24const_host_device_scalarIT7_EEPKT2_PKS2_PKT4_PKT5_llS5_PT6_ll16rocsparse_order_21rocsparse_index_base_b, .Lfunc_end70-_ZN9rocsparseL29bsrmmnt_small_blockdim_kernelILj64ELj16ELj2EiiDF16_DF16_ffEEv20rocsparse_direction_T3_S2_llNS_24const_host_device_scalarIT7_EEPKT2_PKS2_PKT4_PKT5_llS5_PT6_ll16rocsparse_order_21rocsparse_index_base_b
                                        ; -- End function
	.set _ZN9rocsparseL29bsrmmnt_small_blockdim_kernelILj64ELj16ELj2EiiDF16_DF16_ffEEv20rocsparse_direction_T3_S2_llNS_24const_host_device_scalarIT7_EEPKT2_PKS2_PKT4_PKT5_llS5_PT6_ll16rocsparse_order_21rocsparse_index_base_b.num_vgpr, 30
	.set _ZN9rocsparseL29bsrmmnt_small_blockdim_kernelILj64ELj16ELj2EiiDF16_DF16_ffEEv20rocsparse_direction_T3_S2_llNS_24const_host_device_scalarIT7_EEPKT2_PKS2_PKT4_PKT5_llS5_PT6_ll16rocsparse_order_21rocsparse_index_base_b.num_agpr, 0
	.set _ZN9rocsparseL29bsrmmnt_small_blockdim_kernelILj64ELj16ELj2EiiDF16_DF16_ffEEv20rocsparse_direction_T3_S2_llNS_24const_host_device_scalarIT7_EEPKT2_PKS2_PKT4_PKT5_llS5_PT6_ll16rocsparse_order_21rocsparse_index_base_b.numbered_sgpr, 32
	.set _ZN9rocsparseL29bsrmmnt_small_blockdim_kernelILj64ELj16ELj2EiiDF16_DF16_ffEEv20rocsparse_direction_T3_S2_llNS_24const_host_device_scalarIT7_EEPKT2_PKS2_PKT4_PKT5_llS5_PT6_ll16rocsparse_order_21rocsparse_index_base_b.num_named_barrier, 0
	.set _ZN9rocsparseL29bsrmmnt_small_blockdim_kernelILj64ELj16ELj2EiiDF16_DF16_ffEEv20rocsparse_direction_T3_S2_llNS_24const_host_device_scalarIT7_EEPKT2_PKS2_PKT4_PKT5_llS5_PT6_ll16rocsparse_order_21rocsparse_index_base_b.private_seg_size, 0
	.set _ZN9rocsparseL29bsrmmnt_small_blockdim_kernelILj64ELj16ELj2EiiDF16_DF16_ffEEv20rocsparse_direction_T3_S2_llNS_24const_host_device_scalarIT7_EEPKT2_PKS2_PKT4_PKT5_llS5_PT6_ll16rocsparse_order_21rocsparse_index_base_b.uses_vcc, 1
	.set _ZN9rocsparseL29bsrmmnt_small_blockdim_kernelILj64ELj16ELj2EiiDF16_DF16_ffEEv20rocsparse_direction_T3_S2_llNS_24const_host_device_scalarIT7_EEPKT2_PKS2_PKT4_PKT5_llS5_PT6_ll16rocsparse_order_21rocsparse_index_base_b.uses_flat_scratch, 0
	.set _ZN9rocsparseL29bsrmmnt_small_blockdim_kernelILj64ELj16ELj2EiiDF16_DF16_ffEEv20rocsparse_direction_T3_S2_llNS_24const_host_device_scalarIT7_EEPKT2_PKS2_PKT4_PKT5_llS5_PT6_ll16rocsparse_order_21rocsparse_index_base_b.has_dyn_sized_stack, 0
	.set _ZN9rocsparseL29bsrmmnt_small_blockdim_kernelILj64ELj16ELj2EiiDF16_DF16_ffEEv20rocsparse_direction_T3_S2_llNS_24const_host_device_scalarIT7_EEPKT2_PKS2_PKT4_PKT5_llS5_PT6_ll16rocsparse_order_21rocsparse_index_base_b.has_recursion, 0
	.set _ZN9rocsparseL29bsrmmnt_small_blockdim_kernelILj64ELj16ELj2EiiDF16_DF16_ffEEv20rocsparse_direction_T3_S2_llNS_24const_host_device_scalarIT7_EEPKT2_PKS2_PKT4_PKT5_llS5_PT6_ll16rocsparse_order_21rocsparse_index_base_b.has_indirect_call, 0
	.section	.AMDGPU.csdata,"",@progbits
; Kernel info:
; codeLenInByte = 1428
; TotalNumSgprs: 36
; NumVgprs: 30
; ScratchSize: 0
; MemoryBound: 0
; FloatMode: 240
; IeeeMode: 1
; LDSByteSize: 640 bytes/workgroup (compile time only)
; SGPRBlocks: 4
; VGPRBlocks: 7
; NumSGPRsForWavesPerEU: 36
; NumVGPRsForWavesPerEU: 30
; Occupancy: 8
; WaveLimiterHint : 0
; COMPUTE_PGM_RSRC2:SCRATCH_EN: 0
; COMPUTE_PGM_RSRC2:USER_SGPR: 6
; COMPUTE_PGM_RSRC2:TRAP_HANDLER: 0
; COMPUTE_PGM_RSRC2:TGID_X_EN: 1
; COMPUTE_PGM_RSRC2:TGID_Y_EN: 0
; COMPUTE_PGM_RSRC2:TGID_Z_EN: 0
; COMPUTE_PGM_RSRC2:TIDIG_COMP_CNT: 0
	.section	.text._ZN9rocsparseL29bsrmmnt_small_blockdim_kernelILj64ELj32ELj2EiiDF16_DF16_ffEEv20rocsparse_direction_T3_S2_llNS_24const_host_device_scalarIT7_EEPKT2_PKS2_PKT4_PKT5_llS5_PT6_ll16rocsparse_order_21rocsparse_index_base_b,"axG",@progbits,_ZN9rocsparseL29bsrmmnt_small_blockdim_kernelILj64ELj32ELj2EiiDF16_DF16_ffEEv20rocsparse_direction_T3_S2_llNS_24const_host_device_scalarIT7_EEPKT2_PKS2_PKT4_PKT5_llS5_PT6_ll16rocsparse_order_21rocsparse_index_base_b,comdat
	.globl	_ZN9rocsparseL29bsrmmnt_small_blockdim_kernelILj64ELj32ELj2EiiDF16_DF16_ffEEv20rocsparse_direction_T3_S2_llNS_24const_host_device_scalarIT7_EEPKT2_PKS2_PKT4_PKT5_llS5_PT6_ll16rocsparse_order_21rocsparse_index_base_b ; -- Begin function _ZN9rocsparseL29bsrmmnt_small_blockdim_kernelILj64ELj32ELj2EiiDF16_DF16_ffEEv20rocsparse_direction_T3_S2_llNS_24const_host_device_scalarIT7_EEPKT2_PKS2_PKT4_PKT5_llS5_PT6_ll16rocsparse_order_21rocsparse_index_base_b
	.p2align	8
	.type	_ZN9rocsparseL29bsrmmnt_small_blockdim_kernelILj64ELj32ELj2EiiDF16_DF16_ffEEv20rocsparse_direction_T3_S2_llNS_24const_host_device_scalarIT7_EEPKT2_PKS2_PKT4_PKT5_llS5_PT6_ll16rocsparse_order_21rocsparse_index_base_b,@function
_ZN9rocsparseL29bsrmmnt_small_blockdim_kernelILj64ELj32ELj2EiiDF16_DF16_ffEEv20rocsparse_direction_T3_S2_llNS_24const_host_device_scalarIT7_EEPKT2_PKS2_PKT4_PKT5_llS5_PT6_ll16rocsparse_order_21rocsparse_index_base_b: ; @_ZN9rocsparseL29bsrmmnt_small_blockdim_kernelILj64ELj32ELj2EiiDF16_DF16_ffEEv20rocsparse_direction_T3_S2_llNS_24const_host_device_scalarIT7_EEPKT2_PKS2_PKT4_PKT5_llS5_PT6_ll16rocsparse_order_21rocsparse_index_base_b
; %bb.0:
	s_load_dwordx4 s[16:19], s[4:5], 0x78
	s_load_dwordx2 s[28:29], s[4:5], 0x20
	s_load_dwordx2 s[30:31], s[4:5], 0x58
	s_waitcnt lgkmcnt(0)
	s_bitcmp1_b32 s18, 0
	s_cselect_b64 s[2:3], -1, 0
	s_xor_b64 s[0:1], s[2:3], -1
	s_and_b64 vcc, exec, s[2:3]
	s_cbranch_vccnz .LBB71_2
; %bb.1:
	s_load_dword s28, s[28:29], 0x0
.LBB71_2:
	s_andn2_b64 vcc, exec, s[0:1]
	s_cbranch_vccnz .LBB71_4
; %bb.3:
	s_load_dword s30, s[30:31], 0x0
.LBB71_4:
	s_waitcnt lgkmcnt(0)
	v_cmp_eq_f32_e64 s[0:1], s28, 0
	v_cmp_eq_f32_e64 s[2:3], s30, 1.0
	s_and_b64 s[0:1], s[0:1], s[2:3]
	s_and_b64 vcc, exec, s[0:1]
	s_cbranch_vccnz .LBB71_30
; %bb.5:
	s_load_dword s0, s[4:5], 0x94
	s_load_dwordx4 s[20:23], s[4:5], 0x0
	s_waitcnt lgkmcnt(0)
	s_and_b32 s0, s0, 0xffff
	s_mul_i32 s6, s6, s0
	v_add_u32_e32 v1, s6, v0
	v_lshrrev_b32_e32 v2, 6, v1
	v_cmp_gt_i32_e32 vcc, s21, v2
	s_and_saveexec_b64 s[0:1], vcc
	s_cbranch_execz .LBB71_30
; %bb.6:
	s_cmp_lt_i32 s22, 1
	s_cbranch_scc1 .LBB71_30
; %bb.7:
	s_load_dwordx8 s[8:15], s[4:5], 0x28
	v_lshlrev_b32_e32 v2, 2, v2
	v_bfe_u32 v4, v1, 5, 1
	v_and_b32_e32 v6, 31, v0
	v_lshrrev_b32_e32 v0, 5, v0
	s_waitcnt lgkmcnt(0)
	global_load_dwordx2 v[2:3], v2, s[8:9]
	s_load_dwordx4 s[24:27], s[4:5], 0x60
	s_load_dwordx2 s[6:7], s[4:5], 0x48
	v_mov_b32_e32 v5, 0x180
	s_cmp_eq_u32 s20, 0
	v_lshrrev_b32_e32 v12, 5, v1
	v_lshl_add_u32 v7, v0, 7, v5
	v_lshlrev_b32_e32 v5, 1, v4
	s_cselect_b64 vcc, -1, 0
	v_or_b32_e32 v11, 2, v4
	v_mul_u32_u24_e32 v8, 0xc0, v0
	v_or_b32_e32 v0, 1, v5
	v_cndmask_b32_e32 v10, v4, v5, vcc
	s_waitcnt lgkmcnt(0)
	v_mad_u64_u32 v[4:5], s[0:1], s26, v12, 0
	v_mov_b32_e32 v1, 0
	v_cndmask_b32_e32 v11, v11, v0, vcc
	v_mov_b32_e32 v0, v5
	v_mad_u64_u32 v[14:15], s[0:1], s27, v12, v[0:1]
	v_lshlrev_b32_e32 v13, 2, v12
	v_mov_b32_e32 v17, s25
	v_mov_b32_e32 v5, v14
	v_add_co_u32_e32 v12, vcc, s24, v13
	v_lshlrev_b64 v[4:5], 2, v[4:5]
	v_addc_co_u32_e32 v13, vcc, 0, v17, vcc
	v_mul_u32_u24_e32 v18, 6, v6
	s_cmp_lg_u32 s16, 1
	v_mov_b32_e32 v16, s25
	v_add_co_u32_e32 v14, vcc, s24, v4
	s_mov_b32 s23, 0
	v_cmp_neq_f32_e64 s[4:5], s30, 0
	v_lshl_or_b32 v9, v6, 2, v7
	s_cselect_b64 s[8:9], -1, 0
	v_addc_co_u32_e32 v15, vcc, v16, v5, vcc
	v_add_u32_e32 v18, v8, v18
	s_waitcnt vmcnt(0)
	v_subrev_u32_e32 v16, s17, v2
	v_subrev_u32_e32 v17, s17, v3
	v_cmp_lt_i32_e64 s[0:1], v2, v3
	s_branch .LBB71_9
.LBB71_8:                               ;   in Loop: Header=BB71_9 Depth=1
	s_or_b64 exec, exec, s[2:3]
	s_add_i32 s23, s23, 32
	s_cmp_lt_i32 s23, s22
	s_cbranch_scc0 .LBB71_30
.LBB71_9:                               ; =>This Loop Header: Depth=1
                                        ;     Child Loop BB71_12 Depth 2
                                        ;       Child Loop BB71_16 Depth 3
	v_or_b32_e32 v2, s23, v6
	v_ashrrev_i32_e32 v3, 31, v2
	v_mov_b32_e32 v22, v1
	s_and_saveexec_b64 s[18:19], s[0:1]
	s_cbranch_execz .LBB71_18
; %bb.10:                               ;   in Loop: Header=BB71_9 Depth=1
	v_lshlrev_b64 v[4:5], 1, v[2:3]
	v_mov_b32_e32 v0, s15
	v_add_co_u32_e64 v19, s[2:3], s14, v4
	v_cmp_gt_i32_e32 vcc, s22, v2
	v_addc_co_u32_e64 v20, s[2:3], v0, v5, s[2:3]
	v_mov_b32_e32 v22, 0
	s_mov_b64 s[20:21], 0
	v_mov_b32_e32 v21, v16
	s_branch .LBB71_12
.LBB71_11:                              ;   in Loop: Header=BB71_12 Depth=2
	s_or_b64 exec, exec, s[24:25]
	v_add_u32_e32 v21, 32, v21
	v_cmp_ge_i32_e64 s[2:3], v21, v17
	s_or_b64 s[20:21], s[2:3], s[20:21]
	s_andn2_b64 exec, exec, s[20:21]
	s_cbranch_execz .LBB71_17
.LBB71_12:                              ;   Parent Loop BB71_9 Depth=1
                                        ; =>  This Loop Header: Depth=2
                                        ;       Child Loop BB71_16 Depth 3
	v_add_u32_e32 v4, v21, v6
	v_cmp_lt_i32_e64 s[2:3], v4, v17
	v_mov_b32_e32 v23, 0
	v_mov_b32_e32 v0, 0
	;; [unrolled: 1-line block ×3, first 2 shown]
	s_and_saveexec_b64 s[24:25], s[2:3]
	s_cbranch_execz .LBB71_14
; %bb.13:                               ;   in Loop: Header=BB71_12 Depth=2
	v_ashrrev_i32_e32 v5, 31, v4
	v_lshlrev_b64 v[23:24], 2, v[4:5]
	v_mov_b32_e32 v0, s11
	v_add_co_u32_e64 v23, s[2:3], s10, v23
	v_lshlrev_b32_e32 v25, 2, v4
	v_addc_co_u32_e64 v24, s[2:3], v0, v24, s[2:3]
	v_or_b32_e32 v0, v25, v10
	v_lshlrev_b64 v[4:5], 1, v[0:1]
	global_load_dword v27, v[23:24], off
	v_mov_b32_e32 v0, s13
	v_add_co_u32_e64 v23, s[2:3], s12, v4
	v_addc_co_u32_e64 v24, s[2:3], v0, v5, s[2:3]
	v_or_b32_e32 v0, v25, v11
	v_lshlrev_b64 v[4:5], 1, v[0:1]
	v_mov_b32_e32 v0, s13
	v_add_co_u32_e64 v25, s[2:3], s12, v4
	v_addc_co_u32_e64 v26, s[2:3], v0, v5, s[2:3]
	global_load_ushort v0, v[23:24], off
	global_load_ushort v5, v[25:26], off
	s_waitcnt vmcnt(2)
	v_subrev_u32_e32 v4, s17, v27
	v_lshlrev_b32_e32 v23, 1, v4
.LBB71_14:                              ;   in Loop: Header=BB71_12 Depth=2
	s_or_b64 exec, exec, s[24:25]
	ds_write_b32 v9, v23
	s_waitcnt vmcnt(1)
	ds_write_b16 v18, v0
	s_waitcnt vmcnt(0)
	ds_write_b16 v18, v5 offset:2
	s_waitcnt lgkmcnt(0)
	; wave barrier
	s_and_saveexec_b64 s[24:25], vcc
	s_cbranch_execz .LBB71_11
; %bb.15:                               ;   in Loop: Header=BB71_12 Depth=2
	s_mov_b32 s16, 0
	v_mov_b32_e32 v0, v8
.LBB71_16:                              ;   Parent Loop BB71_9 Depth=1
                                        ;     Parent Loop BB71_12 Depth=2
                                        ; =>    This Inner Loop Header: Depth=3
	v_add_u32_e32 v4, s16, v7
	ds_read_b64 v[4:5], v4
	s_add_i32 s16, s16, 8
	s_cmpk_lg_i32 s16, 0x80
	s_waitcnt lgkmcnt(0)
	v_ashrrev_i32_e32 v23, 31, v4
	v_mul_lo_u32 v25, s6, v23
	v_mul_lo_u32 v26, s7, v4
	v_mad_u64_u32 v[23:24], s[2:3], s6, v4, 0
	v_add_u32_e32 v4, 1, v4
	v_mul_lo_u32 v29, s7, v4
	v_add3_u32 v24, v24, v25, v26
	v_lshlrev_b64 v[23:24], 1, v[23:24]
	v_add_co_u32_e64 v23, s[2:3], v19, v23
	v_addc_co_u32_e64 v24, s[2:3], v20, v24, s[2:3]
	global_load_ushort v23, v[23:24], off
	ds_read_b32 v24, v0
	ds_read_u16 v25, v0 offset:6
	ds_read_u16 v26, v0 offset:8
	v_add_u32_e32 v0, 12, v0
	s_waitcnt vmcnt(0) lgkmcnt(2)
	v_fma_mix_f32 v27, v24, v23, v22 op_sel_hi:[1,1,0]
	v_ashrrev_i32_e32 v22, 31, v4
	v_mul_lo_u32 v28, s6, v22
	v_mad_u64_u32 v[22:23], s[2:3], s6, v4, 0
	v_add3_u32 v23, v23, v28, v29
	v_lshlrev_b64 v[22:23], 1, v[22:23]
	v_add_co_u32_e64 v22, s[2:3], v19, v22
	v_addc_co_u32_e64 v23, s[2:3], v20, v23, s[2:3]
	global_load_ushort v4, v[22:23], off
	v_ashrrev_i32_e32 v22, 31, v5
	s_waitcnt vmcnt(0)
	v_fma_mix_f32 v4, v24, v4, v27 op_sel:[1,0,0] op_sel_hi:[1,1,0]
	v_mul_lo_u32 v24, s6, v22
	v_mul_lo_u32 v27, s7, v5
	v_mad_u64_u32 v[22:23], s[2:3], s6, v5, 0
	v_add3_u32 v23, v23, v24, v27
	v_lshlrev_b64 v[22:23], 1, v[22:23]
	v_add_co_u32_e64 v22, s[2:3], v19, v22
	v_addc_co_u32_e64 v23, s[2:3], v20, v23, s[2:3]
	global_load_ushort v22, v[22:23], off
	s_waitcnt vmcnt(0) lgkmcnt(1)
	v_fma_mix_f32 v22, v25, v22, v4 op_sel_hi:[1,1,0]
	v_add_u32_e32 v4, 1, v5
	v_ashrrev_i32_e32 v5, 31, v4
	v_mul_lo_u32 v23, s6, v5
	v_mul_lo_u32 v24, s7, v4
	v_mad_u64_u32 v[4:5], s[2:3], s6, v4, 0
	v_add3_u32 v5, v5, v23, v24
	v_lshlrev_b64 v[4:5], 1, v[4:5]
	v_add_co_u32_e64 v4, s[2:3], v19, v4
	v_addc_co_u32_e64 v5, s[2:3], v20, v5, s[2:3]
	global_load_ushort v4, v[4:5], off
	s_waitcnt vmcnt(0) lgkmcnt(0)
	v_fma_mix_f32 v22, v26, v4, v22 op_sel_hi:[1,1,0]
	s_cbranch_scc1 .LBB71_16
	s_branch .LBB71_11
.LBB71_17:                              ;   in Loop: Header=BB71_9 Depth=1
	s_or_b64 exec, exec, s[20:21]
.LBB71_18:                              ;   in Loop: Header=BB71_9 Depth=1
	s_or_b64 exec, exec, s[18:19]
	v_cmp_gt_i32_e32 vcc, s22, v2
	s_and_saveexec_b64 s[2:3], vcc
	s_cbranch_execz .LBB71_8
; %bb.19:                               ;   in Loop: Header=BB71_9 Depth=1
	s_mov_b64 s[18:19], -1
	s_and_b64 vcc, exec, s[4:5]
	s_cbranch_vccz .LBB71_25
; %bb.20:                               ;   in Loop: Header=BB71_9 Depth=1
	s_and_b64 vcc, exec, s[8:9]
	s_cbranch_vccz .LBB71_22
; %bb.21:                               ;   in Loop: Header=BB71_9 Depth=1
	v_lshlrev_b64 v[4:5], 2, v[2:3]
	v_mul_f32_e32 v19, s28, v22
	v_add_co_u32_e32 v4, vcc, v14, v4
	v_addc_co_u32_e32 v5, vcc, v15, v5, vcc
	global_load_dword v0, v[4:5], off
	s_mov_b64 s[18:19], 0
	s_waitcnt vmcnt(0)
	v_fmac_f32_e32 v19, s30, v0
	global_store_dword v[4:5], v19, off
.LBB71_22:                              ;   in Loop: Header=BB71_9 Depth=1
	s_andn2_b64 vcc, exec, s[18:19]
	s_cbranch_vccnz .LBB71_24
; %bb.23:                               ;   in Loop: Header=BB71_9 Depth=1
	v_mul_lo_u32 v0, s27, v2
	v_mul_lo_u32 v19, s26, v3
	v_mad_u64_u32 v[4:5], s[18:19], s26, v2, 0
	v_add3_u32 v5, v5, v19, v0
	v_lshlrev_b64 v[4:5], 2, v[4:5]
	v_mul_f32_e32 v19, s28, v22
	v_add_co_u32_e32 v4, vcc, v12, v4
	v_addc_co_u32_e32 v5, vcc, v13, v5, vcc
	global_load_dword v0, v[4:5], off
	s_waitcnt vmcnt(0)
	v_fmac_f32_e32 v19, s30, v0
	global_store_dword v[4:5], v19, off
.LBB71_24:                              ;   in Loop: Header=BB71_9 Depth=1
	s_mov_b64 s[18:19], 0
.LBB71_25:                              ;   in Loop: Header=BB71_9 Depth=1
	s_andn2_b64 vcc, exec, s[18:19]
	s_cbranch_vccnz .LBB71_8
; %bb.26:                               ;   in Loop: Header=BB71_9 Depth=1
	v_mul_f32_e32 v0, s28, v22
	s_mov_b64 s[18:19], -1
	s_and_b64 vcc, exec, s[8:9]
	s_cbranch_vccz .LBB71_28
; %bb.27:                               ;   in Loop: Header=BB71_9 Depth=1
	v_lshlrev_b64 v[4:5], 2, v[2:3]
	s_mov_b64 s[18:19], 0
	v_add_co_u32_e32 v4, vcc, v14, v4
	v_addc_co_u32_e32 v5, vcc, v15, v5, vcc
	global_store_dword v[4:5], v0, off
.LBB71_28:                              ;   in Loop: Header=BB71_9 Depth=1
	s_andn2_b64 vcc, exec, s[18:19]
	s_cbranch_vccnz .LBB71_8
; %bb.29:                               ;   in Loop: Header=BB71_9 Depth=1
	v_mul_lo_u32 v4, s27, v2
	v_mul_lo_u32 v5, s26, v3
	v_mad_u64_u32 v[2:3], s[18:19], s26, v2, 0
	v_add3_u32 v3, v3, v5, v4
	v_lshlrev_b64 v[2:3], 2, v[2:3]
	v_add_co_u32_e32 v2, vcc, v12, v2
	v_addc_co_u32_e32 v3, vcc, v13, v3, vcc
	global_store_dword v[2:3], v0, off
	s_branch .LBB71_8
.LBB71_30:
	s_endpgm
	.section	.rodata,"a",@progbits
	.p2align	6, 0x0
	.amdhsa_kernel _ZN9rocsparseL29bsrmmnt_small_blockdim_kernelILj64ELj32ELj2EiiDF16_DF16_ffEEv20rocsparse_direction_T3_S2_llNS_24const_host_device_scalarIT7_EEPKT2_PKS2_PKT4_PKT5_llS5_PT6_ll16rocsparse_order_21rocsparse_index_base_b
		.amdhsa_group_segment_fixed_size 640
		.amdhsa_private_segment_fixed_size 0
		.amdhsa_kernarg_size 392
		.amdhsa_user_sgpr_count 6
		.amdhsa_user_sgpr_private_segment_buffer 1
		.amdhsa_user_sgpr_dispatch_ptr 0
		.amdhsa_user_sgpr_queue_ptr 0
		.amdhsa_user_sgpr_kernarg_segment_ptr 1
		.amdhsa_user_sgpr_dispatch_id 0
		.amdhsa_user_sgpr_flat_scratch_init 0
		.amdhsa_user_sgpr_private_segment_size 0
		.amdhsa_uses_dynamic_stack 0
		.amdhsa_system_sgpr_private_segment_wavefront_offset 0
		.amdhsa_system_sgpr_workgroup_id_x 1
		.amdhsa_system_sgpr_workgroup_id_y 0
		.amdhsa_system_sgpr_workgroup_id_z 0
		.amdhsa_system_sgpr_workgroup_info 0
		.amdhsa_system_vgpr_workitem_id 0
		.amdhsa_next_free_vgpr 30
		.amdhsa_next_free_sgpr 32
		.amdhsa_reserve_vcc 1
		.amdhsa_reserve_flat_scratch 0
		.amdhsa_float_round_mode_32 0
		.amdhsa_float_round_mode_16_64 0
		.amdhsa_float_denorm_mode_32 3
		.amdhsa_float_denorm_mode_16_64 3
		.amdhsa_dx10_clamp 1
		.amdhsa_ieee_mode 1
		.amdhsa_fp16_overflow 0
		.amdhsa_exception_fp_ieee_invalid_op 0
		.amdhsa_exception_fp_denorm_src 0
		.amdhsa_exception_fp_ieee_div_zero 0
		.amdhsa_exception_fp_ieee_overflow 0
		.amdhsa_exception_fp_ieee_underflow 0
		.amdhsa_exception_fp_ieee_inexact 0
		.amdhsa_exception_int_div_zero 0
	.end_amdhsa_kernel
	.section	.text._ZN9rocsparseL29bsrmmnt_small_blockdim_kernelILj64ELj32ELj2EiiDF16_DF16_ffEEv20rocsparse_direction_T3_S2_llNS_24const_host_device_scalarIT7_EEPKT2_PKS2_PKT4_PKT5_llS5_PT6_ll16rocsparse_order_21rocsparse_index_base_b,"axG",@progbits,_ZN9rocsparseL29bsrmmnt_small_blockdim_kernelILj64ELj32ELj2EiiDF16_DF16_ffEEv20rocsparse_direction_T3_S2_llNS_24const_host_device_scalarIT7_EEPKT2_PKS2_PKT4_PKT5_llS5_PT6_ll16rocsparse_order_21rocsparse_index_base_b,comdat
.Lfunc_end71:
	.size	_ZN9rocsparseL29bsrmmnt_small_blockdim_kernelILj64ELj32ELj2EiiDF16_DF16_ffEEv20rocsparse_direction_T3_S2_llNS_24const_host_device_scalarIT7_EEPKT2_PKS2_PKT4_PKT5_llS5_PT6_ll16rocsparse_order_21rocsparse_index_base_b, .Lfunc_end71-_ZN9rocsparseL29bsrmmnt_small_blockdim_kernelILj64ELj32ELj2EiiDF16_DF16_ffEEv20rocsparse_direction_T3_S2_llNS_24const_host_device_scalarIT7_EEPKT2_PKS2_PKT4_PKT5_llS5_PT6_ll16rocsparse_order_21rocsparse_index_base_b
                                        ; -- End function
	.set _ZN9rocsparseL29bsrmmnt_small_blockdim_kernelILj64ELj32ELj2EiiDF16_DF16_ffEEv20rocsparse_direction_T3_S2_llNS_24const_host_device_scalarIT7_EEPKT2_PKS2_PKT4_PKT5_llS5_PT6_ll16rocsparse_order_21rocsparse_index_base_b.num_vgpr, 30
	.set _ZN9rocsparseL29bsrmmnt_small_blockdim_kernelILj64ELj32ELj2EiiDF16_DF16_ffEEv20rocsparse_direction_T3_S2_llNS_24const_host_device_scalarIT7_EEPKT2_PKS2_PKT4_PKT5_llS5_PT6_ll16rocsparse_order_21rocsparse_index_base_b.num_agpr, 0
	.set _ZN9rocsparseL29bsrmmnt_small_blockdim_kernelILj64ELj32ELj2EiiDF16_DF16_ffEEv20rocsparse_direction_T3_S2_llNS_24const_host_device_scalarIT7_EEPKT2_PKS2_PKT4_PKT5_llS5_PT6_ll16rocsparse_order_21rocsparse_index_base_b.numbered_sgpr, 32
	.set _ZN9rocsparseL29bsrmmnt_small_blockdim_kernelILj64ELj32ELj2EiiDF16_DF16_ffEEv20rocsparse_direction_T3_S2_llNS_24const_host_device_scalarIT7_EEPKT2_PKS2_PKT4_PKT5_llS5_PT6_ll16rocsparse_order_21rocsparse_index_base_b.num_named_barrier, 0
	.set _ZN9rocsparseL29bsrmmnt_small_blockdim_kernelILj64ELj32ELj2EiiDF16_DF16_ffEEv20rocsparse_direction_T3_S2_llNS_24const_host_device_scalarIT7_EEPKT2_PKS2_PKT4_PKT5_llS5_PT6_ll16rocsparse_order_21rocsparse_index_base_b.private_seg_size, 0
	.set _ZN9rocsparseL29bsrmmnt_small_blockdim_kernelILj64ELj32ELj2EiiDF16_DF16_ffEEv20rocsparse_direction_T3_S2_llNS_24const_host_device_scalarIT7_EEPKT2_PKS2_PKT4_PKT5_llS5_PT6_ll16rocsparse_order_21rocsparse_index_base_b.uses_vcc, 1
	.set _ZN9rocsparseL29bsrmmnt_small_blockdim_kernelILj64ELj32ELj2EiiDF16_DF16_ffEEv20rocsparse_direction_T3_S2_llNS_24const_host_device_scalarIT7_EEPKT2_PKS2_PKT4_PKT5_llS5_PT6_ll16rocsparse_order_21rocsparse_index_base_b.uses_flat_scratch, 0
	.set _ZN9rocsparseL29bsrmmnt_small_blockdim_kernelILj64ELj32ELj2EiiDF16_DF16_ffEEv20rocsparse_direction_T3_S2_llNS_24const_host_device_scalarIT7_EEPKT2_PKS2_PKT4_PKT5_llS5_PT6_ll16rocsparse_order_21rocsparse_index_base_b.has_dyn_sized_stack, 0
	.set _ZN9rocsparseL29bsrmmnt_small_blockdim_kernelILj64ELj32ELj2EiiDF16_DF16_ffEEv20rocsparse_direction_T3_S2_llNS_24const_host_device_scalarIT7_EEPKT2_PKS2_PKT4_PKT5_llS5_PT6_ll16rocsparse_order_21rocsparse_index_base_b.has_recursion, 0
	.set _ZN9rocsparseL29bsrmmnt_small_blockdim_kernelILj64ELj32ELj2EiiDF16_DF16_ffEEv20rocsparse_direction_T3_S2_llNS_24const_host_device_scalarIT7_EEPKT2_PKS2_PKT4_PKT5_llS5_PT6_ll16rocsparse_order_21rocsparse_index_base_b.has_indirect_call, 0
	.section	.AMDGPU.csdata,"",@progbits
; Kernel info:
; codeLenInByte = 1428
; TotalNumSgprs: 36
; NumVgprs: 30
; ScratchSize: 0
; MemoryBound: 0
; FloatMode: 240
; IeeeMode: 1
; LDSByteSize: 640 bytes/workgroup (compile time only)
; SGPRBlocks: 4
; VGPRBlocks: 7
; NumSGPRsForWavesPerEU: 36
; NumVGPRsForWavesPerEU: 30
; Occupancy: 8
; WaveLimiterHint : 0
; COMPUTE_PGM_RSRC2:SCRATCH_EN: 0
; COMPUTE_PGM_RSRC2:USER_SGPR: 6
; COMPUTE_PGM_RSRC2:TRAP_HANDLER: 0
; COMPUTE_PGM_RSRC2:TGID_X_EN: 1
; COMPUTE_PGM_RSRC2:TGID_Y_EN: 0
; COMPUTE_PGM_RSRC2:TGID_Z_EN: 0
; COMPUTE_PGM_RSRC2:TIDIG_COMP_CNT: 0
	.section	.text._ZN9rocsparseL29bsrmmnt_small_blockdim_kernelILj64ELj64ELj2EiiDF16_DF16_ffEEv20rocsparse_direction_T3_S2_llNS_24const_host_device_scalarIT7_EEPKT2_PKS2_PKT4_PKT5_llS5_PT6_ll16rocsparse_order_21rocsparse_index_base_b,"axG",@progbits,_ZN9rocsparseL29bsrmmnt_small_blockdim_kernelILj64ELj64ELj2EiiDF16_DF16_ffEEv20rocsparse_direction_T3_S2_llNS_24const_host_device_scalarIT7_EEPKT2_PKS2_PKT4_PKT5_llS5_PT6_ll16rocsparse_order_21rocsparse_index_base_b,comdat
	.globl	_ZN9rocsparseL29bsrmmnt_small_blockdim_kernelILj64ELj64ELj2EiiDF16_DF16_ffEEv20rocsparse_direction_T3_S2_llNS_24const_host_device_scalarIT7_EEPKT2_PKS2_PKT4_PKT5_llS5_PT6_ll16rocsparse_order_21rocsparse_index_base_b ; -- Begin function _ZN9rocsparseL29bsrmmnt_small_blockdim_kernelILj64ELj64ELj2EiiDF16_DF16_ffEEv20rocsparse_direction_T3_S2_llNS_24const_host_device_scalarIT7_EEPKT2_PKS2_PKT4_PKT5_llS5_PT6_ll16rocsparse_order_21rocsparse_index_base_b
	.p2align	8
	.type	_ZN9rocsparseL29bsrmmnt_small_blockdim_kernelILj64ELj64ELj2EiiDF16_DF16_ffEEv20rocsparse_direction_T3_S2_llNS_24const_host_device_scalarIT7_EEPKT2_PKS2_PKT4_PKT5_llS5_PT6_ll16rocsparse_order_21rocsparse_index_base_b,@function
_ZN9rocsparseL29bsrmmnt_small_blockdim_kernelILj64ELj64ELj2EiiDF16_DF16_ffEEv20rocsparse_direction_T3_S2_llNS_24const_host_device_scalarIT7_EEPKT2_PKS2_PKT4_PKT5_llS5_PT6_ll16rocsparse_order_21rocsparse_index_base_b: ; @_ZN9rocsparseL29bsrmmnt_small_blockdim_kernelILj64ELj64ELj2EiiDF16_DF16_ffEEv20rocsparse_direction_T3_S2_llNS_24const_host_device_scalarIT7_EEPKT2_PKS2_PKT4_PKT5_llS5_PT6_ll16rocsparse_order_21rocsparse_index_base_b
; %bb.0:
	s_load_dwordx4 s[16:19], s[4:5], 0x78
	s_load_dwordx2 s[28:29], s[4:5], 0x20
	s_load_dwordx2 s[30:31], s[4:5], 0x58
	s_waitcnt lgkmcnt(0)
	s_bitcmp1_b32 s18, 0
	s_cselect_b64 s[2:3], -1, 0
	s_xor_b64 s[0:1], s[2:3], -1
	s_and_b64 vcc, exec, s[2:3]
	s_cbranch_vccnz .LBB72_2
; %bb.1:
	s_load_dword s28, s[28:29], 0x0
.LBB72_2:
	s_andn2_b64 vcc, exec, s[0:1]
	s_cbranch_vccnz .LBB72_4
; %bb.3:
	s_load_dword s30, s[30:31], 0x0
.LBB72_4:
	s_waitcnt lgkmcnt(0)
	v_cmp_eq_f32_e64 s[0:1], s28, 0
	v_cmp_eq_f32_e64 s[2:3], s30, 1.0
	s_and_b64 s[0:1], s[0:1], s[2:3]
	s_and_b64 vcc, exec, s[0:1]
	s_cbranch_vccnz .LBB72_30
; %bb.5:
	s_load_dword s0, s[4:5], 0x94
	s_load_dwordx4 s[20:23], s[4:5], 0x0
	s_waitcnt lgkmcnt(0)
	s_and_b32 s0, s0, 0xffff
	s_mul_i32 s6, s6, s0
	v_add_u32_e32 v1, s6, v0
	v_lshrrev_b32_e32 v2, 7, v1
	v_cmp_gt_i32_e32 vcc, s21, v2
	s_and_saveexec_b64 s[0:1], vcc
	s_cbranch_execz .LBB72_30
; %bb.6:
	s_cmp_lt_i32 s22, 1
	s_cbranch_scc1 .LBB72_30
; %bb.7:
	s_load_dwordx8 s[8:15], s[4:5], 0x28
	v_lshlrev_b32_e32 v2, 2, v2
	v_lshrrev_b32_e32 v10, 6, v1
	v_bfe_u32 v1, v1, 6, 1
	s_cmp_eq_u32 s20, 0
	s_waitcnt lgkmcnt(0)
	global_load_dwordx2 v[3:4], v2, s[8:9]
	s_load_dwordx4 s[24:27], s[4:5], 0x60
	s_load_dwordx2 s[6:7], s[4:5], 0x48
	v_lshlrev_b32_e32 v9, 1, v1
	s_cselect_b64 vcc, -1, 0
	v_mov_b32_e32 v2, 0
	s_waitcnt lgkmcnt(0)
	v_mad_u64_u32 v[5:6], s[0:1], s26, v10, 0
	v_or_b32_e32 v16, 2, v1
	v_or_b32_e32 v17, 1, v9
	v_cndmask_b32_e32 v9, v1, v9, vcc
	v_mov_b32_e32 v1, v6
	v_mad_u64_u32 v[12:13], s[0:1], s27, v10, v[1:2]
	v_lshlrev_b32_e32 v11, 2, v10
	v_mov_b32_e32 v15, s25
	v_mov_b32_e32 v6, v12
	v_add_co_u32_e64 v10, s[0:1], s24, v11
	v_lshlrev_b64 v[5:6], 2, v[5:6]
	v_addc_co_u32_e64 v11, s[0:1], 0, v15, s[0:1]
	v_mov_b32_e32 v14, s25
	v_add_co_u32_e64 v12, s[0:1], s24, v5
	s_cmp_lg_u32 s16, 1
	v_addc_co_u32_e64 v13, s[0:1], v14, v6, s[0:1]
	v_mov_b32_e32 v7, 0x180
	s_mov_b32 s23, 0
	v_mul_u32_u24_e32 v8, 6, v0
	v_cmp_neq_f32_e64 s[4:5], s30, 0
	s_cselect_b64 s[8:9], -1, 0
	v_cndmask_b32_e32 v16, v16, v17, vcc
	s_waitcnt vmcnt(0)
	v_subrev_u32_e32 v14, s17, v3
	v_subrev_u32_e32 v15, s17, v4
	v_cmp_lt_i32_e64 s[0:1], v3, v4
	s_branch .LBB72_9
.LBB72_8:                               ;   in Loop: Header=BB72_9 Depth=1
	s_or_b64 exec, exec, s[2:3]
	s_add_i32 s23, s23, 64
	s_cmp_lt_i32 s23, s22
	s_cbranch_scc0 .LBB72_30
.LBB72_9:                               ; =>This Loop Header: Depth=1
                                        ;     Child Loop BB72_12 Depth 2
                                        ;       Child Loop BB72_16 Depth 3
	v_or_b32_e32 v3, s23, v0
	v_ashrrev_i32_e32 v4, 31, v3
	v_mov_b32_e32 v20, v2
	s_and_saveexec_b64 s[18:19], s[0:1]
	s_cbranch_execz .LBB72_18
; %bb.10:                               ;   in Loop: Header=BB72_9 Depth=1
	v_lshlrev_b64 v[5:6], 1, v[3:4]
	v_mov_b32_e32 v1, s15
	v_add_co_u32_e64 v17, s[2:3], s14, v5
	v_cmp_gt_i32_e32 vcc, s22, v3
	v_addc_co_u32_e64 v18, s[2:3], v1, v6, s[2:3]
	v_mov_b32_e32 v20, 0
	s_mov_b64 s[20:21], 0
	v_mov_b32_e32 v19, v14
	s_branch .LBB72_12
.LBB72_11:                              ;   in Loop: Header=BB72_12 Depth=2
	s_or_b64 exec, exec, s[24:25]
	v_add_u32_e32 v19, 64, v19
	v_cmp_ge_i32_e64 s[2:3], v19, v15
	s_or_b64 s[20:21], s[2:3], s[20:21]
	s_andn2_b64 exec, exec, s[20:21]
	s_cbranch_execz .LBB72_17
.LBB72_12:                              ;   Parent Loop BB72_9 Depth=1
                                        ; =>  This Loop Header: Depth=2
                                        ;       Child Loop BB72_16 Depth 3
	v_add_u32_e32 v5, v19, v0
	v_cmp_lt_i32_e64 s[2:3], v5, v15
	v_mov_b32_e32 v21, 0
	v_mov_b32_e32 v1, 0
	;; [unrolled: 1-line block ×3, first 2 shown]
	s_and_saveexec_b64 s[24:25], s[2:3]
	s_cbranch_execz .LBB72_14
; %bb.13:                               ;   in Loop: Header=BB72_12 Depth=2
	v_ashrrev_i32_e32 v6, 31, v5
	v_lshlrev_b64 v[21:22], 2, v[5:6]
	v_mov_b32_e32 v1, s11
	v_add_co_u32_e64 v21, s[2:3], s10, v21
	v_lshlrev_b32_e32 v23, 2, v5
	v_addc_co_u32_e64 v22, s[2:3], v1, v22, s[2:3]
	v_or_b32_e32 v1, v23, v9
	v_lshlrev_b64 v[5:6], 1, v[1:2]
	global_load_dword v25, v[21:22], off
	v_mov_b32_e32 v1, s13
	v_add_co_u32_e64 v21, s[2:3], s12, v5
	v_addc_co_u32_e64 v22, s[2:3], v1, v6, s[2:3]
	v_or_b32_e32 v1, v23, v16
	v_lshlrev_b64 v[5:6], 1, v[1:2]
	v_mov_b32_e32 v1, s13
	v_add_co_u32_e64 v23, s[2:3], s12, v5
	v_addc_co_u32_e64 v24, s[2:3], v1, v6, s[2:3]
	global_load_ushort v1, v[21:22], off
	global_load_ushort v6, v[23:24], off
	s_waitcnt vmcnt(2)
	v_subrev_u32_e32 v5, s17, v25
	v_lshlrev_b32_e32 v21, 1, v5
.LBB72_14:                              ;   in Loop: Header=BB72_12 Depth=2
	s_or_b64 exec, exec, s[24:25]
	v_lshl_add_u32 v5, v0, 2, v7
	ds_write_b32 v5, v21
	s_waitcnt vmcnt(1)
	ds_write_b16 v8, v1
	s_waitcnt vmcnt(0)
	ds_write_b16 v8, v6 offset:2
	s_waitcnt lgkmcnt(0)
	; wave barrier
	s_and_saveexec_b64 s[24:25], vcc
	s_cbranch_execz .LBB72_11
; %bb.15:                               ;   in Loop: Header=BB72_12 Depth=2
	s_mov_b32 s16, 0
	v_mov_b32_e32 v1, 0
.LBB72_16:                              ;   Parent Loop BB72_9 Depth=1
                                        ;     Parent Loop BB72_12 Depth=2
                                        ; =>    This Inner Loop Header: Depth=3
	v_add_u32_e32 v5, s16, v7
	ds_read_b64 v[5:6], v5
	s_add_i32 s16, s16, 8
	s_cmpk_lg_i32 s16, 0x100
	s_waitcnt lgkmcnt(0)
	v_ashrrev_i32_e32 v21, 31, v5
	v_mul_lo_u32 v23, s6, v21
	v_mul_lo_u32 v24, s7, v5
	v_mad_u64_u32 v[21:22], s[2:3], s6, v5, 0
	v_add_u32_e32 v5, 1, v5
	v_mul_lo_u32 v27, s7, v5
	v_add3_u32 v22, v22, v23, v24
	v_lshlrev_b64 v[21:22], 1, v[21:22]
	v_add_co_u32_e64 v21, s[2:3], v17, v21
	v_addc_co_u32_e64 v22, s[2:3], v18, v22, s[2:3]
	global_load_ushort v21, v[21:22], off
	ds_read_b32 v22, v1
	ds_read_u16 v23, v1 offset:6
	ds_read_u16 v24, v1 offset:8
	v_add_u32_e32 v1, 12, v1
	s_waitcnt vmcnt(0) lgkmcnt(2)
	v_fma_mix_f32 v25, v22, v21, v20 op_sel_hi:[1,1,0]
	v_ashrrev_i32_e32 v20, 31, v5
	v_mul_lo_u32 v26, s6, v20
	v_mad_u64_u32 v[20:21], s[2:3], s6, v5, 0
	v_add3_u32 v21, v21, v26, v27
	v_lshlrev_b64 v[20:21], 1, v[20:21]
	v_add_co_u32_e64 v20, s[2:3], v17, v20
	v_addc_co_u32_e64 v21, s[2:3], v18, v21, s[2:3]
	global_load_ushort v5, v[20:21], off
	v_ashrrev_i32_e32 v20, 31, v6
	s_waitcnt vmcnt(0)
	v_fma_mix_f32 v5, v22, v5, v25 op_sel:[1,0,0] op_sel_hi:[1,1,0]
	v_mul_lo_u32 v22, s6, v20
	v_mul_lo_u32 v25, s7, v6
	v_mad_u64_u32 v[20:21], s[2:3], s6, v6, 0
	v_add3_u32 v21, v21, v22, v25
	v_lshlrev_b64 v[20:21], 1, v[20:21]
	v_add_co_u32_e64 v20, s[2:3], v17, v20
	v_addc_co_u32_e64 v21, s[2:3], v18, v21, s[2:3]
	global_load_ushort v20, v[20:21], off
	s_waitcnt vmcnt(0) lgkmcnt(1)
	v_fma_mix_f32 v20, v23, v20, v5 op_sel_hi:[1,1,0]
	v_add_u32_e32 v5, 1, v6
	v_ashrrev_i32_e32 v6, 31, v5
	v_mul_lo_u32 v21, s6, v6
	v_mul_lo_u32 v22, s7, v5
	v_mad_u64_u32 v[5:6], s[2:3], s6, v5, 0
	v_add3_u32 v6, v6, v21, v22
	v_lshlrev_b64 v[5:6], 1, v[5:6]
	v_add_co_u32_e64 v5, s[2:3], v17, v5
	v_addc_co_u32_e64 v6, s[2:3], v18, v6, s[2:3]
	global_load_ushort v5, v[5:6], off
	s_waitcnt vmcnt(0) lgkmcnt(0)
	v_fma_mix_f32 v20, v24, v5, v20 op_sel_hi:[1,1,0]
	s_cbranch_scc1 .LBB72_16
	s_branch .LBB72_11
.LBB72_17:                              ;   in Loop: Header=BB72_9 Depth=1
	s_or_b64 exec, exec, s[20:21]
.LBB72_18:                              ;   in Loop: Header=BB72_9 Depth=1
	s_or_b64 exec, exec, s[18:19]
	v_cmp_gt_i32_e32 vcc, s22, v3
	s_and_saveexec_b64 s[2:3], vcc
	s_cbranch_execz .LBB72_8
; %bb.19:                               ;   in Loop: Header=BB72_9 Depth=1
	s_mov_b64 s[18:19], -1
	s_and_b64 vcc, exec, s[4:5]
	s_cbranch_vccz .LBB72_25
; %bb.20:                               ;   in Loop: Header=BB72_9 Depth=1
	s_and_b64 vcc, exec, s[8:9]
	s_cbranch_vccz .LBB72_22
; %bb.21:                               ;   in Loop: Header=BB72_9 Depth=1
	v_lshlrev_b64 v[5:6], 2, v[3:4]
	v_mul_f32_e32 v17, s28, v20
	v_add_co_u32_e32 v5, vcc, v12, v5
	v_addc_co_u32_e32 v6, vcc, v13, v6, vcc
	global_load_dword v1, v[5:6], off
	s_mov_b64 s[18:19], 0
	s_waitcnt vmcnt(0)
	v_fmac_f32_e32 v17, s30, v1
	global_store_dword v[5:6], v17, off
.LBB72_22:                              ;   in Loop: Header=BB72_9 Depth=1
	s_andn2_b64 vcc, exec, s[18:19]
	s_cbranch_vccnz .LBB72_24
; %bb.23:                               ;   in Loop: Header=BB72_9 Depth=1
	v_mul_lo_u32 v1, s27, v3
	v_mul_lo_u32 v17, s26, v4
	v_mad_u64_u32 v[5:6], s[18:19], s26, v3, 0
	v_add3_u32 v6, v6, v17, v1
	v_lshlrev_b64 v[5:6], 2, v[5:6]
	v_mul_f32_e32 v17, s28, v20
	v_add_co_u32_e32 v5, vcc, v10, v5
	v_addc_co_u32_e32 v6, vcc, v11, v6, vcc
	global_load_dword v1, v[5:6], off
	s_waitcnt vmcnt(0)
	v_fmac_f32_e32 v17, s30, v1
	global_store_dword v[5:6], v17, off
.LBB72_24:                              ;   in Loop: Header=BB72_9 Depth=1
	s_mov_b64 s[18:19], 0
.LBB72_25:                              ;   in Loop: Header=BB72_9 Depth=1
	s_andn2_b64 vcc, exec, s[18:19]
	s_cbranch_vccnz .LBB72_8
; %bb.26:                               ;   in Loop: Header=BB72_9 Depth=1
	v_mul_f32_e32 v1, s28, v20
	s_mov_b64 s[18:19], -1
	s_and_b64 vcc, exec, s[8:9]
	s_cbranch_vccz .LBB72_28
; %bb.27:                               ;   in Loop: Header=BB72_9 Depth=1
	v_lshlrev_b64 v[5:6], 2, v[3:4]
	s_mov_b64 s[18:19], 0
	v_add_co_u32_e32 v5, vcc, v12, v5
	v_addc_co_u32_e32 v6, vcc, v13, v6, vcc
	global_store_dword v[5:6], v1, off
.LBB72_28:                              ;   in Loop: Header=BB72_9 Depth=1
	s_andn2_b64 vcc, exec, s[18:19]
	s_cbranch_vccnz .LBB72_8
; %bb.29:                               ;   in Loop: Header=BB72_9 Depth=1
	v_mul_lo_u32 v5, s27, v3
	v_mul_lo_u32 v6, s26, v4
	v_mad_u64_u32 v[3:4], s[18:19], s26, v3, 0
	v_add3_u32 v4, v4, v6, v5
	v_lshlrev_b64 v[3:4], 2, v[3:4]
	v_add_co_u32_e32 v3, vcc, v10, v3
	v_addc_co_u32_e32 v4, vcc, v11, v4, vcc
	global_store_dword v[3:4], v1, off
	s_branch .LBB72_8
.LBB72_30:
	s_endpgm
	.section	.rodata,"a",@progbits
	.p2align	6, 0x0
	.amdhsa_kernel _ZN9rocsparseL29bsrmmnt_small_blockdim_kernelILj64ELj64ELj2EiiDF16_DF16_ffEEv20rocsparse_direction_T3_S2_llNS_24const_host_device_scalarIT7_EEPKT2_PKS2_PKT4_PKT5_llS5_PT6_ll16rocsparse_order_21rocsparse_index_base_b
		.amdhsa_group_segment_fixed_size 640
		.amdhsa_private_segment_fixed_size 0
		.amdhsa_kernarg_size 392
		.amdhsa_user_sgpr_count 6
		.amdhsa_user_sgpr_private_segment_buffer 1
		.amdhsa_user_sgpr_dispatch_ptr 0
		.amdhsa_user_sgpr_queue_ptr 0
		.amdhsa_user_sgpr_kernarg_segment_ptr 1
		.amdhsa_user_sgpr_dispatch_id 0
		.amdhsa_user_sgpr_flat_scratch_init 0
		.amdhsa_user_sgpr_private_segment_size 0
		.amdhsa_uses_dynamic_stack 0
		.amdhsa_system_sgpr_private_segment_wavefront_offset 0
		.amdhsa_system_sgpr_workgroup_id_x 1
		.amdhsa_system_sgpr_workgroup_id_y 0
		.amdhsa_system_sgpr_workgroup_id_z 0
		.amdhsa_system_sgpr_workgroup_info 0
		.amdhsa_system_vgpr_workitem_id 0
		.amdhsa_next_free_vgpr 28
		.amdhsa_next_free_sgpr 32
		.amdhsa_reserve_vcc 1
		.amdhsa_reserve_flat_scratch 0
		.amdhsa_float_round_mode_32 0
		.amdhsa_float_round_mode_16_64 0
		.amdhsa_float_denorm_mode_32 3
		.amdhsa_float_denorm_mode_16_64 3
		.amdhsa_dx10_clamp 1
		.amdhsa_ieee_mode 1
		.amdhsa_fp16_overflow 0
		.amdhsa_exception_fp_ieee_invalid_op 0
		.amdhsa_exception_fp_denorm_src 0
		.amdhsa_exception_fp_ieee_div_zero 0
		.amdhsa_exception_fp_ieee_overflow 0
		.amdhsa_exception_fp_ieee_underflow 0
		.amdhsa_exception_fp_ieee_inexact 0
		.amdhsa_exception_int_div_zero 0
	.end_amdhsa_kernel
	.section	.text._ZN9rocsparseL29bsrmmnt_small_blockdim_kernelILj64ELj64ELj2EiiDF16_DF16_ffEEv20rocsparse_direction_T3_S2_llNS_24const_host_device_scalarIT7_EEPKT2_PKS2_PKT4_PKT5_llS5_PT6_ll16rocsparse_order_21rocsparse_index_base_b,"axG",@progbits,_ZN9rocsparseL29bsrmmnt_small_blockdim_kernelILj64ELj64ELj2EiiDF16_DF16_ffEEv20rocsparse_direction_T3_S2_llNS_24const_host_device_scalarIT7_EEPKT2_PKS2_PKT4_PKT5_llS5_PT6_ll16rocsparse_order_21rocsparse_index_base_b,comdat
.Lfunc_end72:
	.size	_ZN9rocsparseL29bsrmmnt_small_blockdim_kernelILj64ELj64ELj2EiiDF16_DF16_ffEEv20rocsparse_direction_T3_S2_llNS_24const_host_device_scalarIT7_EEPKT2_PKS2_PKT4_PKT5_llS5_PT6_ll16rocsparse_order_21rocsparse_index_base_b, .Lfunc_end72-_ZN9rocsparseL29bsrmmnt_small_blockdim_kernelILj64ELj64ELj2EiiDF16_DF16_ffEEv20rocsparse_direction_T3_S2_llNS_24const_host_device_scalarIT7_EEPKT2_PKS2_PKT4_PKT5_llS5_PT6_ll16rocsparse_order_21rocsparse_index_base_b
                                        ; -- End function
	.set _ZN9rocsparseL29bsrmmnt_small_blockdim_kernelILj64ELj64ELj2EiiDF16_DF16_ffEEv20rocsparse_direction_T3_S2_llNS_24const_host_device_scalarIT7_EEPKT2_PKS2_PKT4_PKT5_llS5_PT6_ll16rocsparse_order_21rocsparse_index_base_b.num_vgpr, 28
	.set _ZN9rocsparseL29bsrmmnt_small_blockdim_kernelILj64ELj64ELj2EiiDF16_DF16_ffEEv20rocsparse_direction_T3_S2_llNS_24const_host_device_scalarIT7_EEPKT2_PKS2_PKT4_PKT5_llS5_PT6_ll16rocsparse_order_21rocsparse_index_base_b.num_agpr, 0
	.set _ZN9rocsparseL29bsrmmnt_small_blockdim_kernelILj64ELj64ELj2EiiDF16_DF16_ffEEv20rocsparse_direction_T3_S2_llNS_24const_host_device_scalarIT7_EEPKT2_PKS2_PKT4_PKT5_llS5_PT6_ll16rocsparse_order_21rocsparse_index_base_b.numbered_sgpr, 32
	.set _ZN9rocsparseL29bsrmmnt_small_blockdim_kernelILj64ELj64ELj2EiiDF16_DF16_ffEEv20rocsparse_direction_T3_S2_llNS_24const_host_device_scalarIT7_EEPKT2_PKS2_PKT4_PKT5_llS5_PT6_ll16rocsparse_order_21rocsparse_index_base_b.num_named_barrier, 0
	.set _ZN9rocsparseL29bsrmmnt_small_blockdim_kernelILj64ELj64ELj2EiiDF16_DF16_ffEEv20rocsparse_direction_T3_S2_llNS_24const_host_device_scalarIT7_EEPKT2_PKS2_PKT4_PKT5_llS5_PT6_ll16rocsparse_order_21rocsparse_index_base_b.private_seg_size, 0
	.set _ZN9rocsparseL29bsrmmnt_small_blockdim_kernelILj64ELj64ELj2EiiDF16_DF16_ffEEv20rocsparse_direction_T3_S2_llNS_24const_host_device_scalarIT7_EEPKT2_PKS2_PKT4_PKT5_llS5_PT6_ll16rocsparse_order_21rocsparse_index_base_b.uses_vcc, 1
	.set _ZN9rocsparseL29bsrmmnt_small_blockdim_kernelILj64ELj64ELj2EiiDF16_DF16_ffEEv20rocsparse_direction_T3_S2_llNS_24const_host_device_scalarIT7_EEPKT2_PKS2_PKT4_PKT5_llS5_PT6_ll16rocsparse_order_21rocsparse_index_base_b.uses_flat_scratch, 0
	.set _ZN9rocsparseL29bsrmmnt_small_blockdim_kernelILj64ELj64ELj2EiiDF16_DF16_ffEEv20rocsparse_direction_T3_S2_llNS_24const_host_device_scalarIT7_EEPKT2_PKS2_PKT4_PKT5_llS5_PT6_ll16rocsparse_order_21rocsparse_index_base_b.has_dyn_sized_stack, 0
	.set _ZN9rocsparseL29bsrmmnt_small_blockdim_kernelILj64ELj64ELj2EiiDF16_DF16_ffEEv20rocsparse_direction_T3_S2_llNS_24const_host_device_scalarIT7_EEPKT2_PKS2_PKT4_PKT5_llS5_PT6_ll16rocsparse_order_21rocsparse_index_base_b.has_recursion, 0
	.set _ZN9rocsparseL29bsrmmnt_small_blockdim_kernelILj64ELj64ELj2EiiDF16_DF16_ffEEv20rocsparse_direction_T3_S2_llNS_24const_host_device_scalarIT7_EEPKT2_PKS2_PKT4_PKT5_llS5_PT6_ll16rocsparse_order_21rocsparse_index_base_b.has_indirect_call, 0
	.section	.AMDGPU.csdata,"",@progbits
; Kernel info:
; codeLenInByte = 1416
; TotalNumSgprs: 36
; NumVgprs: 28
; ScratchSize: 0
; MemoryBound: 0
; FloatMode: 240
; IeeeMode: 1
; LDSByteSize: 640 bytes/workgroup (compile time only)
; SGPRBlocks: 4
; VGPRBlocks: 6
; NumSGPRsForWavesPerEU: 36
; NumVGPRsForWavesPerEU: 28
; Occupancy: 9
; WaveLimiterHint : 0
; COMPUTE_PGM_RSRC2:SCRATCH_EN: 0
; COMPUTE_PGM_RSRC2:USER_SGPR: 6
; COMPUTE_PGM_RSRC2:TRAP_HANDLER: 0
; COMPUTE_PGM_RSRC2:TGID_X_EN: 1
; COMPUTE_PGM_RSRC2:TGID_Y_EN: 0
; COMPUTE_PGM_RSRC2:TGID_Z_EN: 0
; COMPUTE_PGM_RSRC2:TIDIG_COMP_CNT: 0
	.section	.text._ZN9rocsparseL29bsrmmnt_small_blockdim_kernelILj64ELj8ELj2EliDF16_DF16_ffEEv20rocsparse_direction_T3_S2_llNS_24const_host_device_scalarIT7_EEPKT2_PKS2_PKT4_PKT5_llS5_PT6_ll16rocsparse_order_21rocsparse_index_base_b,"axG",@progbits,_ZN9rocsparseL29bsrmmnt_small_blockdim_kernelILj64ELj8ELj2EliDF16_DF16_ffEEv20rocsparse_direction_T3_S2_llNS_24const_host_device_scalarIT7_EEPKT2_PKS2_PKT4_PKT5_llS5_PT6_ll16rocsparse_order_21rocsparse_index_base_b,comdat
	.globl	_ZN9rocsparseL29bsrmmnt_small_blockdim_kernelILj64ELj8ELj2EliDF16_DF16_ffEEv20rocsparse_direction_T3_S2_llNS_24const_host_device_scalarIT7_EEPKT2_PKS2_PKT4_PKT5_llS5_PT6_ll16rocsparse_order_21rocsparse_index_base_b ; -- Begin function _ZN9rocsparseL29bsrmmnt_small_blockdim_kernelILj64ELj8ELj2EliDF16_DF16_ffEEv20rocsparse_direction_T3_S2_llNS_24const_host_device_scalarIT7_EEPKT2_PKS2_PKT4_PKT5_llS5_PT6_ll16rocsparse_order_21rocsparse_index_base_b
	.p2align	8
	.type	_ZN9rocsparseL29bsrmmnt_small_blockdim_kernelILj64ELj8ELj2EliDF16_DF16_ffEEv20rocsparse_direction_T3_S2_llNS_24const_host_device_scalarIT7_EEPKT2_PKS2_PKT4_PKT5_llS5_PT6_ll16rocsparse_order_21rocsparse_index_base_b,@function
_ZN9rocsparseL29bsrmmnt_small_blockdim_kernelILj64ELj8ELj2EliDF16_DF16_ffEEv20rocsparse_direction_T3_S2_llNS_24const_host_device_scalarIT7_EEPKT2_PKS2_PKT4_PKT5_llS5_PT6_ll16rocsparse_order_21rocsparse_index_base_b: ; @_ZN9rocsparseL29bsrmmnt_small_blockdim_kernelILj64ELj8ELj2EliDF16_DF16_ffEEv20rocsparse_direction_T3_S2_llNS_24const_host_device_scalarIT7_EEPKT2_PKS2_PKT4_PKT5_llS5_PT6_ll16rocsparse_order_21rocsparse_index_base_b
; %bb.0:
	s_load_dwordx4 s[16:19], s[4:5], 0x78
	s_load_dwordx2 s[28:29], s[4:5], 0x20
	s_load_dwordx2 s[30:31], s[4:5], 0x58
	s_waitcnt lgkmcnt(0)
	s_bitcmp1_b32 s18, 0
	s_cselect_b64 s[2:3], -1, 0
	s_xor_b64 s[0:1], s[2:3], -1
	s_and_b64 vcc, exec, s[2:3]
	s_cbranch_vccnz .LBB73_2
; %bb.1:
	s_load_dword s28, s[28:29], 0x0
.LBB73_2:
	s_andn2_b64 vcc, exec, s[0:1]
	s_cbranch_vccnz .LBB73_4
; %bb.3:
	s_load_dword s30, s[30:31], 0x0
.LBB73_4:
	s_waitcnt lgkmcnt(0)
	v_cmp_eq_f32_e64 s[0:1], s28, 0
	v_cmp_eq_f32_e64 s[2:3], s30, 1.0
	s_and_b64 s[0:1], s[0:1], s[2:3]
	s_and_b64 vcc, exec, s[0:1]
	s_cbranch_vccnz .LBB73_30
; %bb.5:
	s_load_dword s0, s[4:5], 0x94
	s_load_dwordx4 s[20:23], s[4:5], 0x0
	s_waitcnt lgkmcnt(0)
	s_and_b32 s0, s0, 0xffff
	s_mul_i32 s6, s6, s0
	v_add_u32_e32 v1, s6, v0
	v_lshrrev_b32_e32 v2, 4, v1
	v_cmp_gt_i32_e32 vcc, s21, v2
	s_and_saveexec_b64 s[0:1], vcc
	s_cbranch_execz .LBB73_30
; %bb.6:
	s_cmp_lt_i32 s22, 1
	s_cbranch_scc1 .LBB73_30
; %bb.7:
	s_load_dwordx8 s[8:15], s[4:5], 0x28
	v_lshlrev_b32_e32 v2, 3, v2
	s_cmp_lg_u32 s16, 1
	v_and_b32_e32 v10, 7, v0
	v_lshrrev_b32_e32 v0, 3, v0
	s_waitcnt lgkmcnt(0)
	global_load_dwordx4 v[4:7], v2, s[8:9]
	s_load_dwordx4 s[24:27], s[4:5], 0x60
	s_load_dwordx2 s[6:7], s[4:5], 0x48
	s_cselect_b64 s[8:9], -1, 0
	s_cmp_eq_u32 s20, 0
	v_mov_b32_e32 v3, 0x180
	s_cselect_b64 s[0:1], -1, 0
	v_lshrrev_b32_e32 v2, 3, v1
	v_bfe_u32 v1, v1, 3, 1
	v_lshl_add_u32 v11, v0, 5, v3
	v_mul_u32_u24_e32 v12, 48, v0
	v_cndmask_b32_e64 v0, 0, 1, s[0:1]
	v_lshlrev_b32_e32 v0, v0, v1
	s_and_b64 s[0:1], s[0:1], exec
	v_lshlrev_b32_e32 v9, 1, v0
	s_waitcnt lgkmcnt(0)
	v_mad_u64_u32 v[0:1], s[0:1], s26, v2, 0
	v_lshlrev_b32_e32 v3, 2, v2
	v_mov_b32_e32 v15, s25
	v_mad_u64_u32 v[1:2], s[0:1], s27, v2, v[1:2]
	v_add_co_u32_e32 v14, vcc, s24, v3
	v_addc_co_u32_e32 v15, vcc, 0, v15, vcc
	v_mov_b32_e32 v17, s13
	v_add_co_u32_e32 v16, vcc, s12, v9
	v_lshlrev_b64 v[0:1], 2, v[0:1]
	v_addc_co_u32_e32 v17, vcc, 0, v17, vcc
	v_mov_b32_e32 v19, s25
	v_add_co_u32_e32 v18, vcc, s24, v0
	v_addc_co_u32_e32 v19, vcc, v19, v1, vcc
	v_mul_u32_u24_e32 v8, 6, v10
	s_mov_b32 s23, 0
	v_cmp_neq_f32_e64 s[4:5], s30, 0
	v_lshl_or_b32 v13, v10, 2, v11
	s_cselect_b32 s16, 2, 4
	v_add_u32_e32 v20, v12, v8
	s_waitcnt vmcnt(0)
	v_subrev_co_u32_e32 v0, vcc, s17, v4
	v_subbrev_co_u32_e32 v1, vcc, 0, v5, vcc
	v_subrev_co_u32_e32 v2, vcc, s17, v6
	v_cmp_lt_i64_e64 s[0:1], v[4:5], v[6:7]
	v_subbrev_co_u32_e32 v3, vcc, 0, v7, vcc
	s_branch .LBB73_9
.LBB73_8:                               ;   in Loop: Header=BB73_9 Depth=1
	s_or_b64 exec, exec, s[2:3]
	s_add_i32 s23, s23, 8
	s_cmp_lt_i32 s23, s22
	s_cbranch_scc0 .LBB73_30
.LBB73_9:                               ; =>This Loop Header: Depth=1
                                        ;     Child Loop BB73_12 Depth 2
                                        ;       Child Loop BB73_16 Depth 3
	v_or_b32_e32 v4, s23, v10
	v_ashrrev_i32_e32 v5, 31, v4
	v_mov_b32_e32 v23, 0
	s_and_saveexec_b64 s[12:13], s[0:1]
	s_cbranch_execz .LBB73_18
; %bb.10:                               ;   in Loop: Header=BB73_9 Depth=1
	v_lshlrev_b64 v[6:7], 1, v[4:5]
	v_mov_b32_e32 v8, s15
	v_add_co_u32_e64 v21, s[2:3], s14, v6
	v_addc_co_u32_e64 v22, s[2:3], v8, v7, s[2:3]
	v_mov_b32_e32 v7, v1
	v_cmp_gt_i32_e32 vcc, s22, v4
	v_mov_b32_e32 v23, 0
	s_mov_b64 s[18:19], 0
	v_mov_b32_e32 v6, v0
	s_branch .LBB73_12
.LBB73_11:                              ;   in Loop: Header=BB73_12 Depth=2
	s_or_b64 exec, exec, s[20:21]
	v_add_co_u32_e64 v6, s[2:3], 8, v6
	v_addc_co_u32_e64 v7, s[2:3], 0, v7, s[2:3]
	v_cmp_ge_i64_e64 s[2:3], v[6:7], v[2:3]
	s_or_b64 s[18:19], s[2:3], s[18:19]
	s_andn2_b64 exec, exec, s[18:19]
	s_cbranch_execz .LBB73_17
.LBB73_12:                              ;   Parent Loop BB73_9 Depth=1
                                        ; =>  This Loop Header: Depth=2
                                        ;       Child Loop BB73_16 Depth 3
	v_add_co_u32_e64 v8, s[2:3], v6, v10
	v_addc_co_u32_e64 v9, s[2:3], 0, v7, s[2:3]
	v_cmp_lt_i64_e64 s[2:3], v[8:9], v[2:3]
	v_mov_b32_e32 v26, 0
	v_mov_b32_e32 v24, 0
	;; [unrolled: 1-line block ×3, first 2 shown]
	s_and_saveexec_b64 s[20:21], s[2:3]
	s_cbranch_execz .LBB73_14
; %bb.13:                               ;   in Loop: Header=BB73_12 Depth=2
	v_lshlrev_b64 v[24:25], 2, v[8:9]
	v_mov_b32_e32 v26, s11
	v_add_co_u32_e64 v24, s[2:3], s10, v24
	v_lshlrev_b64 v[8:9], 3, v[8:9]
	v_addc_co_u32_e64 v25, s[2:3], v26, v25, s[2:3]
	v_add_co_u32_e64 v8, s[2:3], v16, v8
	global_load_dword v28, v[24:25], off
	v_addc_co_u32_e64 v9, s[2:3], v17, v9, s[2:3]
	v_add_co_u32_e64 v26, s[2:3], s16, v8
	v_addc_co_u32_e64 v27, s[2:3], 0, v9, s[2:3]
	global_load_ushort v24, v[8:9], off
	global_load_ushort v25, v[26:27], off
	s_waitcnt vmcnt(2)
	v_subrev_u32_e32 v8, s17, v28
	v_lshlrev_b32_e32 v26, 1, v8
.LBB73_14:                              ;   in Loop: Header=BB73_12 Depth=2
	s_or_b64 exec, exec, s[20:21]
	ds_write_b32 v13, v26
	s_waitcnt vmcnt(1)
	ds_write_b16 v20, v24
	s_waitcnt vmcnt(0)
	ds_write_b16 v20, v25 offset:2
	s_waitcnt lgkmcnt(0)
	; wave barrier
	s_and_saveexec_b64 s[20:21], vcc
	s_cbranch_execz .LBB73_11
; %bb.15:                               ;   in Loop: Header=BB73_12 Depth=2
	s_mov_b32 s24, 0
	v_mov_b32_e32 v8, v12
.LBB73_16:                              ;   Parent Loop BB73_9 Depth=1
                                        ;     Parent Loop BB73_12 Depth=2
                                        ; =>    This Inner Loop Header: Depth=3
	v_add_u32_e32 v9, s24, v11
	ds_read_b64 v[24:25], v9
	s_add_i32 s24, s24, 8
	s_cmp_lg_u32 s24, 32
	s_waitcnt lgkmcnt(0)
	v_ashrrev_i32_e32 v9, 31, v24
	v_mul_lo_u32 v9, s6, v9
	v_mul_lo_u32 v28, s7, v24
	v_mad_u64_u32 v[26:27], s[2:3], s6, v24, 0
	v_add3_u32 v27, v27, v9, v28
	v_lshlrev_b64 v[26:27], 1, v[26:27]
	v_add_co_u32_e64 v26, s[2:3], v21, v26
	v_addc_co_u32_e64 v27, s[2:3], v22, v27, s[2:3]
	global_load_ushort v9, v[26:27], off
	ds_read_b32 v26, v8
	ds_read_u16 v27, v8 offset:6
	ds_read_u16 v28, v8 offset:8
	v_add_u32_e32 v8, 12, v8
	s_waitcnt vmcnt(0) lgkmcnt(2)
	v_fma_mix_f32 v9, v26, v9, v23 op_sel_hi:[1,1,0]
	v_add_u32_e32 v23, 1, v24
	v_ashrrev_i32_e32 v24, 31, v23
	v_mul_lo_u32 v29, s6, v24
	v_mul_lo_u32 v30, s7, v23
	v_mad_u64_u32 v[23:24], s[2:3], s6, v23, 0
	v_add3_u32 v24, v24, v29, v30
	v_lshlrev_b64 v[23:24], 1, v[23:24]
	v_mul_lo_u32 v29, s7, v25
	v_add_co_u32_e64 v23, s[2:3], v21, v23
	v_addc_co_u32_e64 v24, s[2:3], v22, v24, s[2:3]
	global_load_ushort v23, v[23:24], off
	s_waitcnt vmcnt(0)
	v_fma_mix_f32 v9, v26, v23, v9 op_sel:[1,0,0] op_sel_hi:[1,1,0]
	v_ashrrev_i32_e32 v23, 31, v25
	v_mul_lo_u32 v26, s6, v23
	v_mad_u64_u32 v[23:24], s[2:3], s6, v25, 0
	v_add3_u32 v24, v24, v26, v29
	v_lshlrev_b64 v[23:24], 1, v[23:24]
	v_add_co_u32_e64 v23, s[2:3], v21, v23
	v_addc_co_u32_e64 v24, s[2:3], v22, v24, s[2:3]
	global_load_ushort v23, v[23:24], off
	s_waitcnt vmcnt(0) lgkmcnt(1)
	v_fma_mix_f32 v9, v27, v23, v9 op_sel_hi:[1,1,0]
	v_add_u32_e32 v23, 1, v25
	v_ashrrev_i32_e32 v24, 31, v23
	v_mul_lo_u32 v25, s6, v24
	v_mul_lo_u32 v26, s7, v23
	v_mad_u64_u32 v[23:24], s[2:3], s6, v23, 0
	v_add3_u32 v24, v24, v25, v26
	v_lshlrev_b64 v[23:24], 1, v[23:24]
	v_add_co_u32_e64 v23, s[2:3], v21, v23
	v_addc_co_u32_e64 v24, s[2:3], v22, v24, s[2:3]
	global_load_ushort v23, v[23:24], off
	s_waitcnt vmcnt(0) lgkmcnt(0)
	v_fma_mix_f32 v23, v28, v23, v9 op_sel_hi:[1,1,0]
	s_cbranch_scc1 .LBB73_16
	s_branch .LBB73_11
.LBB73_17:                              ;   in Loop: Header=BB73_9 Depth=1
	s_or_b64 exec, exec, s[18:19]
.LBB73_18:                              ;   in Loop: Header=BB73_9 Depth=1
	s_or_b64 exec, exec, s[12:13]
	v_cmp_gt_i32_e32 vcc, s22, v4
	s_and_saveexec_b64 s[2:3], vcc
	s_cbranch_execz .LBB73_8
; %bb.19:                               ;   in Loop: Header=BB73_9 Depth=1
	s_mov_b64 s[12:13], -1
	s_and_b64 vcc, exec, s[4:5]
	s_cbranch_vccz .LBB73_25
; %bb.20:                               ;   in Loop: Header=BB73_9 Depth=1
	s_and_b64 vcc, exec, s[8:9]
	s_cbranch_vccz .LBB73_22
; %bb.21:                               ;   in Loop: Header=BB73_9 Depth=1
	v_lshlrev_b64 v[6:7], 2, v[4:5]
	v_mul_f32_e32 v9, s28, v23
	v_add_co_u32_e32 v6, vcc, v18, v6
	v_addc_co_u32_e32 v7, vcc, v19, v7, vcc
	global_load_dword v8, v[6:7], off
	s_mov_b64 s[12:13], 0
	s_waitcnt vmcnt(0)
	v_fmac_f32_e32 v9, s30, v8
	global_store_dword v[6:7], v9, off
.LBB73_22:                              ;   in Loop: Header=BB73_9 Depth=1
	s_andn2_b64 vcc, exec, s[12:13]
	s_cbranch_vccnz .LBB73_24
; %bb.23:                               ;   in Loop: Header=BB73_9 Depth=1
	v_mul_lo_u32 v8, s27, v4
	v_mul_lo_u32 v9, s26, v5
	v_mad_u64_u32 v[6:7], s[12:13], s26, v4, 0
	v_add3_u32 v7, v7, v9, v8
	v_lshlrev_b64 v[6:7], 2, v[6:7]
	v_mul_f32_e32 v9, s28, v23
	v_add_co_u32_e32 v6, vcc, v14, v6
	v_addc_co_u32_e32 v7, vcc, v15, v7, vcc
	global_load_dword v8, v[6:7], off
	s_waitcnt vmcnt(0)
	v_fmac_f32_e32 v9, s30, v8
	global_store_dword v[6:7], v9, off
.LBB73_24:                              ;   in Loop: Header=BB73_9 Depth=1
	s_mov_b64 s[12:13], 0
.LBB73_25:                              ;   in Loop: Header=BB73_9 Depth=1
	s_andn2_b64 vcc, exec, s[12:13]
	s_cbranch_vccnz .LBB73_8
; %bb.26:                               ;   in Loop: Header=BB73_9 Depth=1
	v_mul_f32_e32 v6, s28, v23
	s_mov_b64 s[12:13], -1
	s_and_b64 vcc, exec, s[8:9]
	s_cbranch_vccz .LBB73_28
; %bb.27:                               ;   in Loop: Header=BB73_9 Depth=1
	v_lshlrev_b64 v[7:8], 2, v[4:5]
	s_mov_b64 s[12:13], 0
	v_add_co_u32_e32 v7, vcc, v18, v7
	v_addc_co_u32_e32 v8, vcc, v19, v8, vcc
	global_store_dword v[7:8], v6, off
.LBB73_28:                              ;   in Loop: Header=BB73_9 Depth=1
	s_andn2_b64 vcc, exec, s[12:13]
	s_cbranch_vccnz .LBB73_8
; %bb.29:                               ;   in Loop: Header=BB73_9 Depth=1
	v_mul_lo_u32 v7, s27, v4
	v_mul_lo_u32 v8, s26, v5
	v_mad_u64_u32 v[4:5], s[12:13], s26, v4, 0
	v_add3_u32 v5, v5, v8, v7
	v_lshlrev_b64 v[4:5], 2, v[4:5]
	v_add_co_u32_e32 v4, vcc, v14, v4
	v_addc_co_u32_e32 v5, vcc, v15, v5, vcc
	global_store_dword v[4:5], v6, off
	s_branch .LBB73_8
.LBB73_30:
	s_endpgm
	.section	.rodata,"a",@progbits
	.p2align	6, 0x0
	.amdhsa_kernel _ZN9rocsparseL29bsrmmnt_small_blockdim_kernelILj64ELj8ELj2EliDF16_DF16_ffEEv20rocsparse_direction_T3_S2_llNS_24const_host_device_scalarIT7_EEPKT2_PKS2_PKT4_PKT5_llS5_PT6_ll16rocsparse_order_21rocsparse_index_base_b
		.amdhsa_group_segment_fixed_size 640
		.amdhsa_private_segment_fixed_size 0
		.amdhsa_kernarg_size 392
		.amdhsa_user_sgpr_count 6
		.amdhsa_user_sgpr_private_segment_buffer 1
		.amdhsa_user_sgpr_dispatch_ptr 0
		.amdhsa_user_sgpr_queue_ptr 0
		.amdhsa_user_sgpr_kernarg_segment_ptr 1
		.amdhsa_user_sgpr_dispatch_id 0
		.amdhsa_user_sgpr_flat_scratch_init 0
		.amdhsa_user_sgpr_private_segment_size 0
		.amdhsa_uses_dynamic_stack 0
		.amdhsa_system_sgpr_private_segment_wavefront_offset 0
		.amdhsa_system_sgpr_workgroup_id_x 1
		.amdhsa_system_sgpr_workgroup_id_y 0
		.amdhsa_system_sgpr_workgroup_id_z 0
		.amdhsa_system_sgpr_workgroup_info 0
		.amdhsa_system_vgpr_workitem_id 0
		.amdhsa_next_free_vgpr 31
		.amdhsa_next_free_sgpr 32
		.amdhsa_reserve_vcc 1
		.amdhsa_reserve_flat_scratch 0
		.amdhsa_float_round_mode_32 0
		.amdhsa_float_round_mode_16_64 0
		.amdhsa_float_denorm_mode_32 3
		.amdhsa_float_denorm_mode_16_64 3
		.amdhsa_dx10_clamp 1
		.amdhsa_ieee_mode 1
		.amdhsa_fp16_overflow 0
		.amdhsa_exception_fp_ieee_invalid_op 0
		.amdhsa_exception_fp_denorm_src 0
		.amdhsa_exception_fp_ieee_div_zero 0
		.amdhsa_exception_fp_ieee_overflow 0
		.amdhsa_exception_fp_ieee_underflow 0
		.amdhsa_exception_fp_ieee_inexact 0
		.amdhsa_exception_int_div_zero 0
	.end_amdhsa_kernel
	.section	.text._ZN9rocsparseL29bsrmmnt_small_blockdim_kernelILj64ELj8ELj2EliDF16_DF16_ffEEv20rocsparse_direction_T3_S2_llNS_24const_host_device_scalarIT7_EEPKT2_PKS2_PKT4_PKT5_llS5_PT6_ll16rocsparse_order_21rocsparse_index_base_b,"axG",@progbits,_ZN9rocsparseL29bsrmmnt_small_blockdim_kernelILj64ELj8ELj2EliDF16_DF16_ffEEv20rocsparse_direction_T3_S2_llNS_24const_host_device_scalarIT7_EEPKT2_PKS2_PKT4_PKT5_llS5_PT6_ll16rocsparse_order_21rocsparse_index_base_b,comdat
.Lfunc_end73:
	.size	_ZN9rocsparseL29bsrmmnt_small_blockdim_kernelILj64ELj8ELj2EliDF16_DF16_ffEEv20rocsparse_direction_T3_S2_llNS_24const_host_device_scalarIT7_EEPKT2_PKS2_PKT4_PKT5_llS5_PT6_ll16rocsparse_order_21rocsparse_index_base_b, .Lfunc_end73-_ZN9rocsparseL29bsrmmnt_small_blockdim_kernelILj64ELj8ELj2EliDF16_DF16_ffEEv20rocsparse_direction_T3_S2_llNS_24const_host_device_scalarIT7_EEPKT2_PKS2_PKT4_PKT5_llS5_PT6_ll16rocsparse_order_21rocsparse_index_base_b
                                        ; -- End function
	.set _ZN9rocsparseL29bsrmmnt_small_blockdim_kernelILj64ELj8ELj2EliDF16_DF16_ffEEv20rocsparse_direction_T3_S2_llNS_24const_host_device_scalarIT7_EEPKT2_PKS2_PKT4_PKT5_llS5_PT6_ll16rocsparse_order_21rocsparse_index_base_b.num_vgpr, 31
	.set _ZN9rocsparseL29bsrmmnt_small_blockdim_kernelILj64ELj8ELj2EliDF16_DF16_ffEEv20rocsparse_direction_T3_S2_llNS_24const_host_device_scalarIT7_EEPKT2_PKS2_PKT4_PKT5_llS5_PT6_ll16rocsparse_order_21rocsparse_index_base_b.num_agpr, 0
	.set _ZN9rocsparseL29bsrmmnt_small_blockdim_kernelILj64ELj8ELj2EliDF16_DF16_ffEEv20rocsparse_direction_T3_S2_llNS_24const_host_device_scalarIT7_EEPKT2_PKS2_PKT4_PKT5_llS5_PT6_ll16rocsparse_order_21rocsparse_index_base_b.numbered_sgpr, 32
	.set _ZN9rocsparseL29bsrmmnt_small_blockdim_kernelILj64ELj8ELj2EliDF16_DF16_ffEEv20rocsparse_direction_T3_S2_llNS_24const_host_device_scalarIT7_EEPKT2_PKS2_PKT4_PKT5_llS5_PT6_ll16rocsparse_order_21rocsparse_index_base_b.num_named_barrier, 0
	.set _ZN9rocsparseL29bsrmmnt_small_blockdim_kernelILj64ELj8ELj2EliDF16_DF16_ffEEv20rocsparse_direction_T3_S2_llNS_24const_host_device_scalarIT7_EEPKT2_PKS2_PKT4_PKT5_llS5_PT6_ll16rocsparse_order_21rocsparse_index_base_b.private_seg_size, 0
	.set _ZN9rocsparseL29bsrmmnt_small_blockdim_kernelILj64ELj8ELj2EliDF16_DF16_ffEEv20rocsparse_direction_T3_S2_llNS_24const_host_device_scalarIT7_EEPKT2_PKS2_PKT4_PKT5_llS5_PT6_ll16rocsparse_order_21rocsparse_index_base_b.uses_vcc, 1
	.set _ZN9rocsparseL29bsrmmnt_small_blockdim_kernelILj64ELj8ELj2EliDF16_DF16_ffEEv20rocsparse_direction_T3_S2_llNS_24const_host_device_scalarIT7_EEPKT2_PKS2_PKT4_PKT5_llS5_PT6_ll16rocsparse_order_21rocsparse_index_base_b.uses_flat_scratch, 0
	.set _ZN9rocsparseL29bsrmmnt_small_blockdim_kernelILj64ELj8ELj2EliDF16_DF16_ffEEv20rocsparse_direction_T3_S2_llNS_24const_host_device_scalarIT7_EEPKT2_PKS2_PKT4_PKT5_llS5_PT6_ll16rocsparse_order_21rocsparse_index_base_b.has_dyn_sized_stack, 0
	.set _ZN9rocsparseL29bsrmmnt_small_blockdim_kernelILj64ELj8ELj2EliDF16_DF16_ffEEv20rocsparse_direction_T3_S2_llNS_24const_host_device_scalarIT7_EEPKT2_PKS2_PKT4_PKT5_llS5_PT6_ll16rocsparse_order_21rocsparse_index_base_b.has_recursion, 0
	.set _ZN9rocsparseL29bsrmmnt_small_blockdim_kernelILj64ELj8ELj2EliDF16_DF16_ffEEv20rocsparse_direction_T3_S2_llNS_24const_host_device_scalarIT7_EEPKT2_PKS2_PKT4_PKT5_llS5_PT6_ll16rocsparse_order_21rocsparse_index_base_b.has_indirect_call, 0
	.section	.AMDGPU.csdata,"",@progbits
; Kernel info:
; codeLenInByte = 1432
; TotalNumSgprs: 36
; NumVgprs: 31
; ScratchSize: 0
; MemoryBound: 0
; FloatMode: 240
; IeeeMode: 1
; LDSByteSize: 640 bytes/workgroup (compile time only)
; SGPRBlocks: 4
; VGPRBlocks: 7
; NumSGPRsForWavesPerEU: 36
; NumVGPRsForWavesPerEU: 31
; Occupancy: 8
; WaveLimiterHint : 0
; COMPUTE_PGM_RSRC2:SCRATCH_EN: 0
; COMPUTE_PGM_RSRC2:USER_SGPR: 6
; COMPUTE_PGM_RSRC2:TRAP_HANDLER: 0
; COMPUTE_PGM_RSRC2:TGID_X_EN: 1
; COMPUTE_PGM_RSRC2:TGID_Y_EN: 0
; COMPUTE_PGM_RSRC2:TGID_Z_EN: 0
; COMPUTE_PGM_RSRC2:TIDIG_COMP_CNT: 0
	.section	.text._ZN9rocsparseL29bsrmmnt_small_blockdim_kernelILj64ELj16ELj2EliDF16_DF16_ffEEv20rocsparse_direction_T3_S2_llNS_24const_host_device_scalarIT7_EEPKT2_PKS2_PKT4_PKT5_llS5_PT6_ll16rocsparse_order_21rocsparse_index_base_b,"axG",@progbits,_ZN9rocsparseL29bsrmmnt_small_blockdim_kernelILj64ELj16ELj2EliDF16_DF16_ffEEv20rocsparse_direction_T3_S2_llNS_24const_host_device_scalarIT7_EEPKT2_PKS2_PKT4_PKT5_llS5_PT6_ll16rocsparse_order_21rocsparse_index_base_b,comdat
	.globl	_ZN9rocsparseL29bsrmmnt_small_blockdim_kernelILj64ELj16ELj2EliDF16_DF16_ffEEv20rocsparse_direction_T3_S2_llNS_24const_host_device_scalarIT7_EEPKT2_PKS2_PKT4_PKT5_llS5_PT6_ll16rocsparse_order_21rocsparse_index_base_b ; -- Begin function _ZN9rocsparseL29bsrmmnt_small_blockdim_kernelILj64ELj16ELj2EliDF16_DF16_ffEEv20rocsparse_direction_T3_S2_llNS_24const_host_device_scalarIT7_EEPKT2_PKS2_PKT4_PKT5_llS5_PT6_ll16rocsparse_order_21rocsparse_index_base_b
	.p2align	8
	.type	_ZN9rocsparseL29bsrmmnt_small_blockdim_kernelILj64ELj16ELj2EliDF16_DF16_ffEEv20rocsparse_direction_T3_S2_llNS_24const_host_device_scalarIT7_EEPKT2_PKS2_PKT4_PKT5_llS5_PT6_ll16rocsparse_order_21rocsparse_index_base_b,@function
_ZN9rocsparseL29bsrmmnt_small_blockdim_kernelILj64ELj16ELj2EliDF16_DF16_ffEEv20rocsparse_direction_T3_S2_llNS_24const_host_device_scalarIT7_EEPKT2_PKS2_PKT4_PKT5_llS5_PT6_ll16rocsparse_order_21rocsparse_index_base_b: ; @_ZN9rocsparseL29bsrmmnt_small_blockdim_kernelILj64ELj16ELj2EliDF16_DF16_ffEEv20rocsparse_direction_T3_S2_llNS_24const_host_device_scalarIT7_EEPKT2_PKS2_PKT4_PKT5_llS5_PT6_ll16rocsparse_order_21rocsparse_index_base_b
; %bb.0:
	s_load_dwordx4 s[16:19], s[4:5], 0x78
	s_load_dwordx2 s[28:29], s[4:5], 0x20
	s_load_dwordx2 s[30:31], s[4:5], 0x58
	s_waitcnt lgkmcnt(0)
	s_bitcmp1_b32 s18, 0
	s_cselect_b64 s[2:3], -1, 0
	s_xor_b64 s[0:1], s[2:3], -1
	s_and_b64 vcc, exec, s[2:3]
	s_cbranch_vccnz .LBB74_2
; %bb.1:
	s_load_dword s28, s[28:29], 0x0
.LBB74_2:
	s_andn2_b64 vcc, exec, s[0:1]
	s_cbranch_vccnz .LBB74_4
; %bb.3:
	s_load_dword s30, s[30:31], 0x0
.LBB74_4:
	s_waitcnt lgkmcnt(0)
	v_cmp_eq_f32_e64 s[0:1], s28, 0
	v_cmp_eq_f32_e64 s[2:3], s30, 1.0
	s_and_b64 s[0:1], s[0:1], s[2:3]
	s_and_b64 vcc, exec, s[0:1]
	s_cbranch_vccnz .LBB74_30
; %bb.5:
	s_load_dword s0, s[4:5], 0x94
	s_load_dwordx4 s[20:23], s[4:5], 0x0
	s_waitcnt lgkmcnt(0)
	s_and_b32 s0, s0, 0xffff
	s_mul_i32 s6, s6, s0
	v_add_u32_e32 v1, s6, v0
	v_lshrrev_b32_e32 v2, 5, v1
	v_cmp_gt_i32_e32 vcc, s21, v2
	s_and_saveexec_b64 s[0:1], vcc
	s_cbranch_execz .LBB74_30
; %bb.6:
	s_cmp_lt_i32 s22, 1
	s_cbranch_scc1 .LBB74_30
; %bb.7:
	s_load_dwordx8 s[8:15], s[4:5], 0x28
	v_lshlrev_b32_e32 v2, 3, v2
	s_cmp_lg_u32 s16, 1
	v_and_b32_e32 v10, 15, v0
	v_lshrrev_b32_e32 v0, 4, v0
	s_waitcnt lgkmcnt(0)
	global_load_dwordx4 v[4:7], v2, s[8:9]
	s_load_dwordx4 s[24:27], s[4:5], 0x60
	s_load_dwordx2 s[6:7], s[4:5], 0x48
	s_cselect_b64 s[8:9], -1, 0
	s_cmp_eq_u32 s20, 0
	v_mov_b32_e32 v3, 0x180
	s_cselect_b64 s[0:1], -1, 0
	v_lshrrev_b32_e32 v2, 4, v1
	v_bfe_u32 v1, v1, 4, 1
	v_lshl_add_u32 v11, v0, 6, v3
	v_mul_u32_u24_e32 v12, 0x60, v0
	v_cndmask_b32_e64 v0, 0, 1, s[0:1]
	v_lshlrev_b32_e32 v0, v0, v1
	s_and_b64 s[0:1], s[0:1], exec
	v_lshlrev_b32_e32 v9, 1, v0
	s_waitcnt lgkmcnt(0)
	v_mad_u64_u32 v[0:1], s[0:1], s26, v2, 0
	v_lshlrev_b32_e32 v3, 2, v2
	v_mov_b32_e32 v15, s25
	v_mad_u64_u32 v[1:2], s[0:1], s27, v2, v[1:2]
	v_add_co_u32_e32 v14, vcc, s24, v3
	v_addc_co_u32_e32 v15, vcc, 0, v15, vcc
	v_mov_b32_e32 v17, s13
	v_add_co_u32_e32 v16, vcc, s12, v9
	v_lshlrev_b64 v[0:1], 2, v[0:1]
	v_addc_co_u32_e32 v17, vcc, 0, v17, vcc
	v_mov_b32_e32 v19, s25
	v_add_co_u32_e32 v18, vcc, s24, v0
	v_addc_co_u32_e32 v19, vcc, v19, v1, vcc
	v_mul_u32_u24_e32 v8, 6, v10
	s_mov_b32 s23, 0
	v_cmp_neq_f32_e64 s[4:5], s30, 0
	v_lshl_or_b32 v13, v10, 2, v11
	s_cselect_b32 s16, 2, 4
	v_add_u32_e32 v20, v12, v8
	s_waitcnt vmcnt(0)
	v_subrev_co_u32_e32 v0, vcc, s17, v4
	v_subbrev_co_u32_e32 v1, vcc, 0, v5, vcc
	v_subrev_co_u32_e32 v2, vcc, s17, v6
	v_cmp_lt_i64_e64 s[0:1], v[4:5], v[6:7]
	v_subbrev_co_u32_e32 v3, vcc, 0, v7, vcc
	s_branch .LBB74_9
.LBB74_8:                               ;   in Loop: Header=BB74_9 Depth=1
	s_or_b64 exec, exec, s[2:3]
	s_add_i32 s23, s23, 16
	s_cmp_lt_i32 s23, s22
	s_cbranch_scc0 .LBB74_30
.LBB74_9:                               ; =>This Loop Header: Depth=1
                                        ;     Child Loop BB74_12 Depth 2
                                        ;       Child Loop BB74_16 Depth 3
	v_or_b32_e32 v4, s23, v10
	v_ashrrev_i32_e32 v5, 31, v4
	v_mov_b32_e32 v23, 0
	s_and_saveexec_b64 s[12:13], s[0:1]
	s_cbranch_execz .LBB74_18
; %bb.10:                               ;   in Loop: Header=BB74_9 Depth=1
	v_lshlrev_b64 v[6:7], 1, v[4:5]
	v_mov_b32_e32 v8, s15
	v_add_co_u32_e64 v21, s[2:3], s14, v6
	v_addc_co_u32_e64 v22, s[2:3], v8, v7, s[2:3]
	v_mov_b32_e32 v7, v1
	v_cmp_gt_i32_e32 vcc, s22, v4
	v_mov_b32_e32 v23, 0
	s_mov_b64 s[18:19], 0
	v_mov_b32_e32 v6, v0
	s_branch .LBB74_12
.LBB74_11:                              ;   in Loop: Header=BB74_12 Depth=2
	s_or_b64 exec, exec, s[20:21]
	v_add_co_u32_e64 v6, s[2:3], 16, v6
	v_addc_co_u32_e64 v7, s[2:3], 0, v7, s[2:3]
	v_cmp_ge_i64_e64 s[2:3], v[6:7], v[2:3]
	s_or_b64 s[18:19], s[2:3], s[18:19]
	s_andn2_b64 exec, exec, s[18:19]
	s_cbranch_execz .LBB74_17
.LBB74_12:                              ;   Parent Loop BB74_9 Depth=1
                                        ; =>  This Loop Header: Depth=2
                                        ;       Child Loop BB74_16 Depth 3
	v_add_co_u32_e64 v8, s[2:3], v6, v10
	v_addc_co_u32_e64 v9, s[2:3], 0, v7, s[2:3]
	v_cmp_lt_i64_e64 s[2:3], v[8:9], v[2:3]
	v_mov_b32_e32 v26, 0
	v_mov_b32_e32 v24, 0
	;; [unrolled: 1-line block ×3, first 2 shown]
	s_and_saveexec_b64 s[20:21], s[2:3]
	s_cbranch_execz .LBB74_14
; %bb.13:                               ;   in Loop: Header=BB74_12 Depth=2
	v_lshlrev_b64 v[24:25], 2, v[8:9]
	v_mov_b32_e32 v26, s11
	v_add_co_u32_e64 v24, s[2:3], s10, v24
	v_lshlrev_b64 v[8:9], 3, v[8:9]
	v_addc_co_u32_e64 v25, s[2:3], v26, v25, s[2:3]
	v_add_co_u32_e64 v8, s[2:3], v16, v8
	global_load_dword v28, v[24:25], off
	v_addc_co_u32_e64 v9, s[2:3], v17, v9, s[2:3]
	v_add_co_u32_e64 v26, s[2:3], s16, v8
	v_addc_co_u32_e64 v27, s[2:3], 0, v9, s[2:3]
	global_load_ushort v24, v[8:9], off
	global_load_ushort v25, v[26:27], off
	s_waitcnt vmcnt(2)
	v_subrev_u32_e32 v8, s17, v28
	v_lshlrev_b32_e32 v26, 1, v8
.LBB74_14:                              ;   in Loop: Header=BB74_12 Depth=2
	s_or_b64 exec, exec, s[20:21]
	ds_write_b32 v13, v26
	s_waitcnt vmcnt(1)
	ds_write_b16 v20, v24
	s_waitcnt vmcnt(0)
	ds_write_b16 v20, v25 offset:2
	s_waitcnt lgkmcnt(0)
	; wave barrier
	s_and_saveexec_b64 s[20:21], vcc
	s_cbranch_execz .LBB74_11
; %bb.15:                               ;   in Loop: Header=BB74_12 Depth=2
	s_mov_b32 s24, 0
	v_mov_b32_e32 v8, v12
.LBB74_16:                              ;   Parent Loop BB74_9 Depth=1
                                        ;     Parent Loop BB74_12 Depth=2
                                        ; =>    This Inner Loop Header: Depth=3
	v_add_u32_e32 v9, s24, v11
	ds_read_b64 v[24:25], v9
	s_add_i32 s24, s24, 8
	s_cmp_lg_u32 s24, 64
	s_waitcnt lgkmcnt(0)
	v_ashrrev_i32_e32 v9, 31, v24
	v_mul_lo_u32 v9, s6, v9
	v_mul_lo_u32 v28, s7, v24
	v_mad_u64_u32 v[26:27], s[2:3], s6, v24, 0
	v_add3_u32 v27, v27, v9, v28
	v_lshlrev_b64 v[26:27], 1, v[26:27]
	v_add_co_u32_e64 v26, s[2:3], v21, v26
	v_addc_co_u32_e64 v27, s[2:3], v22, v27, s[2:3]
	global_load_ushort v9, v[26:27], off
	ds_read_b32 v26, v8
	ds_read_u16 v27, v8 offset:6
	ds_read_u16 v28, v8 offset:8
	v_add_u32_e32 v8, 12, v8
	s_waitcnt vmcnt(0) lgkmcnt(2)
	v_fma_mix_f32 v9, v26, v9, v23 op_sel_hi:[1,1,0]
	v_add_u32_e32 v23, 1, v24
	v_ashrrev_i32_e32 v24, 31, v23
	v_mul_lo_u32 v29, s6, v24
	v_mul_lo_u32 v30, s7, v23
	v_mad_u64_u32 v[23:24], s[2:3], s6, v23, 0
	v_add3_u32 v24, v24, v29, v30
	v_lshlrev_b64 v[23:24], 1, v[23:24]
	v_mul_lo_u32 v29, s7, v25
	v_add_co_u32_e64 v23, s[2:3], v21, v23
	v_addc_co_u32_e64 v24, s[2:3], v22, v24, s[2:3]
	global_load_ushort v23, v[23:24], off
	s_waitcnt vmcnt(0)
	v_fma_mix_f32 v9, v26, v23, v9 op_sel:[1,0,0] op_sel_hi:[1,1,0]
	v_ashrrev_i32_e32 v23, 31, v25
	v_mul_lo_u32 v26, s6, v23
	v_mad_u64_u32 v[23:24], s[2:3], s6, v25, 0
	v_add3_u32 v24, v24, v26, v29
	v_lshlrev_b64 v[23:24], 1, v[23:24]
	v_add_co_u32_e64 v23, s[2:3], v21, v23
	v_addc_co_u32_e64 v24, s[2:3], v22, v24, s[2:3]
	global_load_ushort v23, v[23:24], off
	s_waitcnt vmcnt(0) lgkmcnt(1)
	v_fma_mix_f32 v9, v27, v23, v9 op_sel_hi:[1,1,0]
	v_add_u32_e32 v23, 1, v25
	v_ashrrev_i32_e32 v24, 31, v23
	v_mul_lo_u32 v25, s6, v24
	v_mul_lo_u32 v26, s7, v23
	v_mad_u64_u32 v[23:24], s[2:3], s6, v23, 0
	v_add3_u32 v24, v24, v25, v26
	v_lshlrev_b64 v[23:24], 1, v[23:24]
	v_add_co_u32_e64 v23, s[2:3], v21, v23
	v_addc_co_u32_e64 v24, s[2:3], v22, v24, s[2:3]
	global_load_ushort v23, v[23:24], off
	s_waitcnt vmcnt(0) lgkmcnt(0)
	v_fma_mix_f32 v23, v28, v23, v9 op_sel_hi:[1,1,0]
	s_cbranch_scc1 .LBB74_16
	s_branch .LBB74_11
.LBB74_17:                              ;   in Loop: Header=BB74_9 Depth=1
	s_or_b64 exec, exec, s[18:19]
.LBB74_18:                              ;   in Loop: Header=BB74_9 Depth=1
	s_or_b64 exec, exec, s[12:13]
	v_cmp_gt_i32_e32 vcc, s22, v4
	s_and_saveexec_b64 s[2:3], vcc
	s_cbranch_execz .LBB74_8
; %bb.19:                               ;   in Loop: Header=BB74_9 Depth=1
	s_mov_b64 s[12:13], -1
	s_and_b64 vcc, exec, s[4:5]
	s_cbranch_vccz .LBB74_25
; %bb.20:                               ;   in Loop: Header=BB74_9 Depth=1
	s_and_b64 vcc, exec, s[8:9]
	s_cbranch_vccz .LBB74_22
; %bb.21:                               ;   in Loop: Header=BB74_9 Depth=1
	v_lshlrev_b64 v[6:7], 2, v[4:5]
	v_mul_f32_e32 v9, s28, v23
	v_add_co_u32_e32 v6, vcc, v18, v6
	v_addc_co_u32_e32 v7, vcc, v19, v7, vcc
	global_load_dword v8, v[6:7], off
	s_mov_b64 s[12:13], 0
	s_waitcnt vmcnt(0)
	v_fmac_f32_e32 v9, s30, v8
	global_store_dword v[6:7], v9, off
.LBB74_22:                              ;   in Loop: Header=BB74_9 Depth=1
	s_andn2_b64 vcc, exec, s[12:13]
	s_cbranch_vccnz .LBB74_24
; %bb.23:                               ;   in Loop: Header=BB74_9 Depth=1
	v_mul_lo_u32 v8, s27, v4
	v_mul_lo_u32 v9, s26, v5
	v_mad_u64_u32 v[6:7], s[12:13], s26, v4, 0
	v_add3_u32 v7, v7, v9, v8
	v_lshlrev_b64 v[6:7], 2, v[6:7]
	v_mul_f32_e32 v9, s28, v23
	v_add_co_u32_e32 v6, vcc, v14, v6
	v_addc_co_u32_e32 v7, vcc, v15, v7, vcc
	global_load_dword v8, v[6:7], off
	s_waitcnt vmcnt(0)
	v_fmac_f32_e32 v9, s30, v8
	global_store_dword v[6:7], v9, off
.LBB74_24:                              ;   in Loop: Header=BB74_9 Depth=1
	s_mov_b64 s[12:13], 0
.LBB74_25:                              ;   in Loop: Header=BB74_9 Depth=1
	s_andn2_b64 vcc, exec, s[12:13]
	s_cbranch_vccnz .LBB74_8
; %bb.26:                               ;   in Loop: Header=BB74_9 Depth=1
	v_mul_f32_e32 v6, s28, v23
	s_mov_b64 s[12:13], -1
	s_and_b64 vcc, exec, s[8:9]
	s_cbranch_vccz .LBB74_28
; %bb.27:                               ;   in Loop: Header=BB74_9 Depth=1
	v_lshlrev_b64 v[7:8], 2, v[4:5]
	s_mov_b64 s[12:13], 0
	v_add_co_u32_e32 v7, vcc, v18, v7
	v_addc_co_u32_e32 v8, vcc, v19, v8, vcc
	global_store_dword v[7:8], v6, off
.LBB74_28:                              ;   in Loop: Header=BB74_9 Depth=1
	s_andn2_b64 vcc, exec, s[12:13]
	s_cbranch_vccnz .LBB74_8
; %bb.29:                               ;   in Loop: Header=BB74_9 Depth=1
	v_mul_lo_u32 v7, s27, v4
	v_mul_lo_u32 v8, s26, v5
	v_mad_u64_u32 v[4:5], s[12:13], s26, v4, 0
	v_add3_u32 v5, v5, v8, v7
	v_lshlrev_b64 v[4:5], 2, v[4:5]
	v_add_co_u32_e32 v4, vcc, v14, v4
	v_addc_co_u32_e32 v5, vcc, v15, v5, vcc
	global_store_dword v[4:5], v6, off
	s_branch .LBB74_8
.LBB74_30:
	s_endpgm
	.section	.rodata,"a",@progbits
	.p2align	6, 0x0
	.amdhsa_kernel _ZN9rocsparseL29bsrmmnt_small_blockdim_kernelILj64ELj16ELj2EliDF16_DF16_ffEEv20rocsparse_direction_T3_S2_llNS_24const_host_device_scalarIT7_EEPKT2_PKS2_PKT4_PKT5_llS5_PT6_ll16rocsparse_order_21rocsparse_index_base_b
		.amdhsa_group_segment_fixed_size 640
		.amdhsa_private_segment_fixed_size 0
		.amdhsa_kernarg_size 392
		.amdhsa_user_sgpr_count 6
		.amdhsa_user_sgpr_private_segment_buffer 1
		.amdhsa_user_sgpr_dispatch_ptr 0
		.amdhsa_user_sgpr_queue_ptr 0
		.amdhsa_user_sgpr_kernarg_segment_ptr 1
		.amdhsa_user_sgpr_dispatch_id 0
		.amdhsa_user_sgpr_flat_scratch_init 0
		.amdhsa_user_sgpr_private_segment_size 0
		.amdhsa_uses_dynamic_stack 0
		.amdhsa_system_sgpr_private_segment_wavefront_offset 0
		.amdhsa_system_sgpr_workgroup_id_x 1
		.amdhsa_system_sgpr_workgroup_id_y 0
		.amdhsa_system_sgpr_workgroup_id_z 0
		.amdhsa_system_sgpr_workgroup_info 0
		.amdhsa_system_vgpr_workitem_id 0
		.amdhsa_next_free_vgpr 31
		.amdhsa_next_free_sgpr 32
		.amdhsa_reserve_vcc 1
		.amdhsa_reserve_flat_scratch 0
		.amdhsa_float_round_mode_32 0
		.amdhsa_float_round_mode_16_64 0
		.amdhsa_float_denorm_mode_32 3
		.amdhsa_float_denorm_mode_16_64 3
		.amdhsa_dx10_clamp 1
		.amdhsa_ieee_mode 1
		.amdhsa_fp16_overflow 0
		.amdhsa_exception_fp_ieee_invalid_op 0
		.amdhsa_exception_fp_denorm_src 0
		.amdhsa_exception_fp_ieee_div_zero 0
		.amdhsa_exception_fp_ieee_overflow 0
		.amdhsa_exception_fp_ieee_underflow 0
		.amdhsa_exception_fp_ieee_inexact 0
		.amdhsa_exception_int_div_zero 0
	.end_amdhsa_kernel
	.section	.text._ZN9rocsparseL29bsrmmnt_small_blockdim_kernelILj64ELj16ELj2EliDF16_DF16_ffEEv20rocsparse_direction_T3_S2_llNS_24const_host_device_scalarIT7_EEPKT2_PKS2_PKT4_PKT5_llS5_PT6_ll16rocsparse_order_21rocsparse_index_base_b,"axG",@progbits,_ZN9rocsparseL29bsrmmnt_small_blockdim_kernelILj64ELj16ELj2EliDF16_DF16_ffEEv20rocsparse_direction_T3_S2_llNS_24const_host_device_scalarIT7_EEPKT2_PKS2_PKT4_PKT5_llS5_PT6_ll16rocsparse_order_21rocsparse_index_base_b,comdat
.Lfunc_end74:
	.size	_ZN9rocsparseL29bsrmmnt_small_blockdim_kernelILj64ELj16ELj2EliDF16_DF16_ffEEv20rocsparse_direction_T3_S2_llNS_24const_host_device_scalarIT7_EEPKT2_PKS2_PKT4_PKT5_llS5_PT6_ll16rocsparse_order_21rocsparse_index_base_b, .Lfunc_end74-_ZN9rocsparseL29bsrmmnt_small_blockdim_kernelILj64ELj16ELj2EliDF16_DF16_ffEEv20rocsparse_direction_T3_S2_llNS_24const_host_device_scalarIT7_EEPKT2_PKS2_PKT4_PKT5_llS5_PT6_ll16rocsparse_order_21rocsparse_index_base_b
                                        ; -- End function
	.set _ZN9rocsparseL29bsrmmnt_small_blockdim_kernelILj64ELj16ELj2EliDF16_DF16_ffEEv20rocsparse_direction_T3_S2_llNS_24const_host_device_scalarIT7_EEPKT2_PKS2_PKT4_PKT5_llS5_PT6_ll16rocsparse_order_21rocsparse_index_base_b.num_vgpr, 31
	.set _ZN9rocsparseL29bsrmmnt_small_blockdim_kernelILj64ELj16ELj2EliDF16_DF16_ffEEv20rocsparse_direction_T3_S2_llNS_24const_host_device_scalarIT7_EEPKT2_PKS2_PKT4_PKT5_llS5_PT6_ll16rocsparse_order_21rocsparse_index_base_b.num_agpr, 0
	.set _ZN9rocsparseL29bsrmmnt_small_blockdim_kernelILj64ELj16ELj2EliDF16_DF16_ffEEv20rocsparse_direction_T3_S2_llNS_24const_host_device_scalarIT7_EEPKT2_PKS2_PKT4_PKT5_llS5_PT6_ll16rocsparse_order_21rocsparse_index_base_b.numbered_sgpr, 32
	.set _ZN9rocsparseL29bsrmmnt_small_blockdim_kernelILj64ELj16ELj2EliDF16_DF16_ffEEv20rocsparse_direction_T3_S2_llNS_24const_host_device_scalarIT7_EEPKT2_PKS2_PKT4_PKT5_llS5_PT6_ll16rocsparse_order_21rocsparse_index_base_b.num_named_barrier, 0
	.set _ZN9rocsparseL29bsrmmnt_small_blockdim_kernelILj64ELj16ELj2EliDF16_DF16_ffEEv20rocsparse_direction_T3_S2_llNS_24const_host_device_scalarIT7_EEPKT2_PKS2_PKT4_PKT5_llS5_PT6_ll16rocsparse_order_21rocsparse_index_base_b.private_seg_size, 0
	.set _ZN9rocsparseL29bsrmmnt_small_blockdim_kernelILj64ELj16ELj2EliDF16_DF16_ffEEv20rocsparse_direction_T3_S2_llNS_24const_host_device_scalarIT7_EEPKT2_PKS2_PKT4_PKT5_llS5_PT6_ll16rocsparse_order_21rocsparse_index_base_b.uses_vcc, 1
	.set _ZN9rocsparseL29bsrmmnt_small_blockdim_kernelILj64ELj16ELj2EliDF16_DF16_ffEEv20rocsparse_direction_T3_S2_llNS_24const_host_device_scalarIT7_EEPKT2_PKS2_PKT4_PKT5_llS5_PT6_ll16rocsparse_order_21rocsparse_index_base_b.uses_flat_scratch, 0
	.set _ZN9rocsparseL29bsrmmnt_small_blockdim_kernelILj64ELj16ELj2EliDF16_DF16_ffEEv20rocsparse_direction_T3_S2_llNS_24const_host_device_scalarIT7_EEPKT2_PKS2_PKT4_PKT5_llS5_PT6_ll16rocsparse_order_21rocsparse_index_base_b.has_dyn_sized_stack, 0
	.set _ZN9rocsparseL29bsrmmnt_small_blockdim_kernelILj64ELj16ELj2EliDF16_DF16_ffEEv20rocsparse_direction_T3_S2_llNS_24const_host_device_scalarIT7_EEPKT2_PKS2_PKT4_PKT5_llS5_PT6_ll16rocsparse_order_21rocsparse_index_base_b.has_recursion, 0
	.set _ZN9rocsparseL29bsrmmnt_small_blockdim_kernelILj64ELj16ELj2EliDF16_DF16_ffEEv20rocsparse_direction_T3_S2_llNS_24const_host_device_scalarIT7_EEPKT2_PKS2_PKT4_PKT5_llS5_PT6_ll16rocsparse_order_21rocsparse_index_base_b.has_indirect_call, 0
	.section	.AMDGPU.csdata,"",@progbits
; Kernel info:
; codeLenInByte = 1436
; TotalNumSgprs: 36
; NumVgprs: 31
; ScratchSize: 0
; MemoryBound: 0
; FloatMode: 240
; IeeeMode: 1
; LDSByteSize: 640 bytes/workgroup (compile time only)
; SGPRBlocks: 4
; VGPRBlocks: 7
; NumSGPRsForWavesPerEU: 36
; NumVGPRsForWavesPerEU: 31
; Occupancy: 8
; WaveLimiterHint : 0
; COMPUTE_PGM_RSRC2:SCRATCH_EN: 0
; COMPUTE_PGM_RSRC2:USER_SGPR: 6
; COMPUTE_PGM_RSRC2:TRAP_HANDLER: 0
; COMPUTE_PGM_RSRC2:TGID_X_EN: 1
; COMPUTE_PGM_RSRC2:TGID_Y_EN: 0
; COMPUTE_PGM_RSRC2:TGID_Z_EN: 0
; COMPUTE_PGM_RSRC2:TIDIG_COMP_CNT: 0
	.section	.text._ZN9rocsparseL29bsrmmnt_small_blockdim_kernelILj64ELj32ELj2EliDF16_DF16_ffEEv20rocsparse_direction_T3_S2_llNS_24const_host_device_scalarIT7_EEPKT2_PKS2_PKT4_PKT5_llS5_PT6_ll16rocsparse_order_21rocsparse_index_base_b,"axG",@progbits,_ZN9rocsparseL29bsrmmnt_small_blockdim_kernelILj64ELj32ELj2EliDF16_DF16_ffEEv20rocsparse_direction_T3_S2_llNS_24const_host_device_scalarIT7_EEPKT2_PKS2_PKT4_PKT5_llS5_PT6_ll16rocsparse_order_21rocsparse_index_base_b,comdat
	.globl	_ZN9rocsparseL29bsrmmnt_small_blockdim_kernelILj64ELj32ELj2EliDF16_DF16_ffEEv20rocsparse_direction_T3_S2_llNS_24const_host_device_scalarIT7_EEPKT2_PKS2_PKT4_PKT5_llS5_PT6_ll16rocsparse_order_21rocsparse_index_base_b ; -- Begin function _ZN9rocsparseL29bsrmmnt_small_blockdim_kernelILj64ELj32ELj2EliDF16_DF16_ffEEv20rocsparse_direction_T3_S2_llNS_24const_host_device_scalarIT7_EEPKT2_PKS2_PKT4_PKT5_llS5_PT6_ll16rocsparse_order_21rocsparse_index_base_b
	.p2align	8
	.type	_ZN9rocsparseL29bsrmmnt_small_blockdim_kernelILj64ELj32ELj2EliDF16_DF16_ffEEv20rocsparse_direction_T3_S2_llNS_24const_host_device_scalarIT7_EEPKT2_PKS2_PKT4_PKT5_llS5_PT6_ll16rocsparse_order_21rocsparse_index_base_b,@function
_ZN9rocsparseL29bsrmmnt_small_blockdim_kernelILj64ELj32ELj2EliDF16_DF16_ffEEv20rocsparse_direction_T3_S2_llNS_24const_host_device_scalarIT7_EEPKT2_PKS2_PKT4_PKT5_llS5_PT6_ll16rocsparse_order_21rocsparse_index_base_b: ; @_ZN9rocsparseL29bsrmmnt_small_blockdim_kernelILj64ELj32ELj2EliDF16_DF16_ffEEv20rocsparse_direction_T3_S2_llNS_24const_host_device_scalarIT7_EEPKT2_PKS2_PKT4_PKT5_llS5_PT6_ll16rocsparse_order_21rocsparse_index_base_b
; %bb.0:
	s_load_dwordx4 s[16:19], s[4:5], 0x78
	s_load_dwordx2 s[28:29], s[4:5], 0x20
	s_load_dwordx2 s[30:31], s[4:5], 0x58
	s_waitcnt lgkmcnt(0)
	s_bitcmp1_b32 s18, 0
	s_cselect_b64 s[2:3], -1, 0
	s_xor_b64 s[0:1], s[2:3], -1
	s_and_b64 vcc, exec, s[2:3]
	s_cbranch_vccnz .LBB75_2
; %bb.1:
	s_load_dword s28, s[28:29], 0x0
.LBB75_2:
	s_andn2_b64 vcc, exec, s[0:1]
	s_cbranch_vccnz .LBB75_4
; %bb.3:
	s_load_dword s30, s[30:31], 0x0
.LBB75_4:
	s_waitcnt lgkmcnt(0)
	v_cmp_eq_f32_e64 s[0:1], s28, 0
	v_cmp_eq_f32_e64 s[2:3], s30, 1.0
	s_and_b64 s[0:1], s[0:1], s[2:3]
	s_and_b64 vcc, exec, s[0:1]
	s_cbranch_vccnz .LBB75_30
; %bb.5:
	s_load_dword s0, s[4:5], 0x94
	s_load_dwordx4 s[20:23], s[4:5], 0x0
	s_waitcnt lgkmcnt(0)
	s_and_b32 s0, s0, 0xffff
	s_mul_i32 s6, s6, s0
	v_add_u32_e32 v1, s6, v0
	v_lshrrev_b32_e32 v2, 6, v1
	v_cmp_gt_i32_e32 vcc, s21, v2
	s_and_saveexec_b64 s[0:1], vcc
	s_cbranch_execz .LBB75_30
; %bb.6:
	s_cmp_lt_i32 s22, 1
	s_cbranch_scc1 .LBB75_30
; %bb.7:
	s_load_dwordx8 s[8:15], s[4:5], 0x28
	v_lshlrev_b32_e32 v2, 3, v2
	s_cmp_lg_u32 s16, 1
	v_and_b32_e32 v10, 31, v0
	v_lshrrev_b32_e32 v0, 5, v0
	s_waitcnt lgkmcnt(0)
	global_load_dwordx4 v[4:7], v2, s[8:9]
	s_load_dwordx4 s[24:27], s[4:5], 0x60
	s_load_dwordx2 s[6:7], s[4:5], 0x48
	s_cselect_b64 s[8:9], -1, 0
	s_cmp_eq_u32 s20, 0
	v_mov_b32_e32 v3, 0x180
	s_cselect_b64 s[0:1], -1, 0
	v_lshrrev_b32_e32 v2, 5, v1
	v_bfe_u32 v1, v1, 5, 1
	v_lshl_add_u32 v11, v0, 7, v3
	v_mul_u32_u24_e32 v12, 0xc0, v0
	v_cndmask_b32_e64 v0, 0, 1, s[0:1]
	v_lshlrev_b32_e32 v0, v0, v1
	s_and_b64 s[0:1], s[0:1], exec
	v_lshlrev_b32_e32 v9, 1, v0
	s_waitcnt lgkmcnt(0)
	v_mad_u64_u32 v[0:1], s[0:1], s26, v2, 0
	v_lshlrev_b32_e32 v3, 2, v2
	v_mov_b32_e32 v15, s25
	v_mad_u64_u32 v[1:2], s[0:1], s27, v2, v[1:2]
	v_add_co_u32_e32 v14, vcc, s24, v3
	v_addc_co_u32_e32 v15, vcc, 0, v15, vcc
	v_mov_b32_e32 v17, s13
	v_add_co_u32_e32 v16, vcc, s12, v9
	v_lshlrev_b64 v[0:1], 2, v[0:1]
	v_addc_co_u32_e32 v17, vcc, 0, v17, vcc
	v_mov_b32_e32 v19, s25
	v_add_co_u32_e32 v18, vcc, s24, v0
	v_addc_co_u32_e32 v19, vcc, v19, v1, vcc
	v_mul_u32_u24_e32 v8, 6, v10
	s_mov_b32 s23, 0
	v_cmp_neq_f32_e64 s[4:5], s30, 0
	v_lshl_or_b32 v13, v10, 2, v11
	s_cselect_b32 s16, 2, 4
	v_add_u32_e32 v20, v12, v8
	s_waitcnt vmcnt(0)
	v_subrev_co_u32_e32 v0, vcc, s17, v4
	v_subbrev_co_u32_e32 v1, vcc, 0, v5, vcc
	v_subrev_co_u32_e32 v2, vcc, s17, v6
	v_cmp_lt_i64_e64 s[0:1], v[4:5], v[6:7]
	v_subbrev_co_u32_e32 v3, vcc, 0, v7, vcc
	s_branch .LBB75_9
.LBB75_8:                               ;   in Loop: Header=BB75_9 Depth=1
	s_or_b64 exec, exec, s[2:3]
	s_add_i32 s23, s23, 32
	s_cmp_lt_i32 s23, s22
	s_cbranch_scc0 .LBB75_30
.LBB75_9:                               ; =>This Loop Header: Depth=1
                                        ;     Child Loop BB75_12 Depth 2
                                        ;       Child Loop BB75_16 Depth 3
	v_or_b32_e32 v4, s23, v10
	v_ashrrev_i32_e32 v5, 31, v4
	v_mov_b32_e32 v23, 0
	s_and_saveexec_b64 s[12:13], s[0:1]
	s_cbranch_execz .LBB75_18
; %bb.10:                               ;   in Loop: Header=BB75_9 Depth=1
	v_lshlrev_b64 v[6:7], 1, v[4:5]
	v_mov_b32_e32 v8, s15
	v_add_co_u32_e64 v21, s[2:3], s14, v6
	v_addc_co_u32_e64 v22, s[2:3], v8, v7, s[2:3]
	v_mov_b32_e32 v7, v1
	v_cmp_gt_i32_e32 vcc, s22, v4
	v_mov_b32_e32 v23, 0
	s_mov_b64 s[18:19], 0
	v_mov_b32_e32 v6, v0
	s_branch .LBB75_12
.LBB75_11:                              ;   in Loop: Header=BB75_12 Depth=2
	s_or_b64 exec, exec, s[20:21]
	v_add_co_u32_e64 v6, s[2:3], 32, v6
	v_addc_co_u32_e64 v7, s[2:3], 0, v7, s[2:3]
	v_cmp_ge_i64_e64 s[2:3], v[6:7], v[2:3]
	s_or_b64 s[18:19], s[2:3], s[18:19]
	s_andn2_b64 exec, exec, s[18:19]
	s_cbranch_execz .LBB75_17
.LBB75_12:                              ;   Parent Loop BB75_9 Depth=1
                                        ; =>  This Loop Header: Depth=2
                                        ;       Child Loop BB75_16 Depth 3
	v_add_co_u32_e64 v8, s[2:3], v6, v10
	v_addc_co_u32_e64 v9, s[2:3], 0, v7, s[2:3]
	v_cmp_lt_i64_e64 s[2:3], v[8:9], v[2:3]
	v_mov_b32_e32 v26, 0
	v_mov_b32_e32 v24, 0
	;; [unrolled: 1-line block ×3, first 2 shown]
	s_and_saveexec_b64 s[20:21], s[2:3]
	s_cbranch_execz .LBB75_14
; %bb.13:                               ;   in Loop: Header=BB75_12 Depth=2
	v_lshlrev_b64 v[24:25], 2, v[8:9]
	v_mov_b32_e32 v26, s11
	v_add_co_u32_e64 v24, s[2:3], s10, v24
	v_lshlrev_b64 v[8:9], 3, v[8:9]
	v_addc_co_u32_e64 v25, s[2:3], v26, v25, s[2:3]
	v_add_co_u32_e64 v8, s[2:3], v16, v8
	global_load_dword v28, v[24:25], off
	v_addc_co_u32_e64 v9, s[2:3], v17, v9, s[2:3]
	v_add_co_u32_e64 v26, s[2:3], s16, v8
	v_addc_co_u32_e64 v27, s[2:3], 0, v9, s[2:3]
	global_load_ushort v24, v[8:9], off
	global_load_ushort v25, v[26:27], off
	s_waitcnt vmcnt(2)
	v_subrev_u32_e32 v8, s17, v28
	v_lshlrev_b32_e32 v26, 1, v8
.LBB75_14:                              ;   in Loop: Header=BB75_12 Depth=2
	s_or_b64 exec, exec, s[20:21]
	ds_write_b32 v13, v26
	s_waitcnt vmcnt(1)
	ds_write_b16 v20, v24
	s_waitcnt vmcnt(0)
	ds_write_b16 v20, v25 offset:2
	s_waitcnt lgkmcnt(0)
	; wave barrier
	s_and_saveexec_b64 s[20:21], vcc
	s_cbranch_execz .LBB75_11
; %bb.15:                               ;   in Loop: Header=BB75_12 Depth=2
	s_mov_b32 s24, 0
	v_mov_b32_e32 v8, v12
.LBB75_16:                              ;   Parent Loop BB75_9 Depth=1
                                        ;     Parent Loop BB75_12 Depth=2
                                        ; =>    This Inner Loop Header: Depth=3
	v_add_u32_e32 v9, s24, v11
	ds_read_b64 v[24:25], v9
	s_add_i32 s24, s24, 8
	s_cmpk_lg_i32 s24, 0x80
	s_waitcnt lgkmcnt(0)
	v_ashrrev_i32_e32 v9, 31, v24
	v_mul_lo_u32 v9, s6, v9
	v_mul_lo_u32 v28, s7, v24
	v_mad_u64_u32 v[26:27], s[2:3], s6, v24, 0
	v_add3_u32 v27, v27, v9, v28
	v_lshlrev_b64 v[26:27], 1, v[26:27]
	v_add_co_u32_e64 v26, s[2:3], v21, v26
	v_addc_co_u32_e64 v27, s[2:3], v22, v27, s[2:3]
	global_load_ushort v9, v[26:27], off
	ds_read_b32 v26, v8
	ds_read_u16 v27, v8 offset:6
	ds_read_u16 v28, v8 offset:8
	v_add_u32_e32 v8, 12, v8
	s_waitcnt vmcnt(0) lgkmcnt(2)
	v_fma_mix_f32 v9, v26, v9, v23 op_sel_hi:[1,1,0]
	v_add_u32_e32 v23, 1, v24
	v_ashrrev_i32_e32 v24, 31, v23
	v_mul_lo_u32 v29, s6, v24
	v_mul_lo_u32 v30, s7, v23
	v_mad_u64_u32 v[23:24], s[2:3], s6, v23, 0
	v_add3_u32 v24, v24, v29, v30
	v_lshlrev_b64 v[23:24], 1, v[23:24]
	v_mul_lo_u32 v29, s7, v25
	v_add_co_u32_e64 v23, s[2:3], v21, v23
	v_addc_co_u32_e64 v24, s[2:3], v22, v24, s[2:3]
	global_load_ushort v23, v[23:24], off
	s_waitcnt vmcnt(0)
	v_fma_mix_f32 v9, v26, v23, v9 op_sel:[1,0,0] op_sel_hi:[1,1,0]
	v_ashrrev_i32_e32 v23, 31, v25
	v_mul_lo_u32 v26, s6, v23
	v_mad_u64_u32 v[23:24], s[2:3], s6, v25, 0
	v_add3_u32 v24, v24, v26, v29
	v_lshlrev_b64 v[23:24], 1, v[23:24]
	v_add_co_u32_e64 v23, s[2:3], v21, v23
	v_addc_co_u32_e64 v24, s[2:3], v22, v24, s[2:3]
	global_load_ushort v23, v[23:24], off
	s_waitcnt vmcnt(0) lgkmcnt(1)
	v_fma_mix_f32 v9, v27, v23, v9 op_sel_hi:[1,1,0]
	v_add_u32_e32 v23, 1, v25
	v_ashrrev_i32_e32 v24, 31, v23
	v_mul_lo_u32 v25, s6, v24
	v_mul_lo_u32 v26, s7, v23
	v_mad_u64_u32 v[23:24], s[2:3], s6, v23, 0
	v_add3_u32 v24, v24, v25, v26
	v_lshlrev_b64 v[23:24], 1, v[23:24]
	v_add_co_u32_e64 v23, s[2:3], v21, v23
	v_addc_co_u32_e64 v24, s[2:3], v22, v24, s[2:3]
	global_load_ushort v23, v[23:24], off
	s_waitcnt vmcnt(0) lgkmcnt(0)
	v_fma_mix_f32 v23, v28, v23, v9 op_sel_hi:[1,1,0]
	s_cbranch_scc1 .LBB75_16
	s_branch .LBB75_11
.LBB75_17:                              ;   in Loop: Header=BB75_9 Depth=1
	s_or_b64 exec, exec, s[18:19]
.LBB75_18:                              ;   in Loop: Header=BB75_9 Depth=1
	s_or_b64 exec, exec, s[12:13]
	v_cmp_gt_i32_e32 vcc, s22, v4
	s_and_saveexec_b64 s[2:3], vcc
	s_cbranch_execz .LBB75_8
; %bb.19:                               ;   in Loop: Header=BB75_9 Depth=1
	s_mov_b64 s[12:13], -1
	s_and_b64 vcc, exec, s[4:5]
	s_cbranch_vccz .LBB75_25
; %bb.20:                               ;   in Loop: Header=BB75_9 Depth=1
	s_and_b64 vcc, exec, s[8:9]
	s_cbranch_vccz .LBB75_22
; %bb.21:                               ;   in Loop: Header=BB75_9 Depth=1
	v_lshlrev_b64 v[6:7], 2, v[4:5]
	v_mul_f32_e32 v9, s28, v23
	v_add_co_u32_e32 v6, vcc, v18, v6
	v_addc_co_u32_e32 v7, vcc, v19, v7, vcc
	global_load_dword v8, v[6:7], off
	s_mov_b64 s[12:13], 0
	s_waitcnt vmcnt(0)
	v_fmac_f32_e32 v9, s30, v8
	global_store_dword v[6:7], v9, off
.LBB75_22:                              ;   in Loop: Header=BB75_9 Depth=1
	s_andn2_b64 vcc, exec, s[12:13]
	s_cbranch_vccnz .LBB75_24
; %bb.23:                               ;   in Loop: Header=BB75_9 Depth=1
	v_mul_lo_u32 v8, s27, v4
	v_mul_lo_u32 v9, s26, v5
	v_mad_u64_u32 v[6:7], s[12:13], s26, v4, 0
	v_add3_u32 v7, v7, v9, v8
	v_lshlrev_b64 v[6:7], 2, v[6:7]
	v_mul_f32_e32 v9, s28, v23
	v_add_co_u32_e32 v6, vcc, v14, v6
	v_addc_co_u32_e32 v7, vcc, v15, v7, vcc
	global_load_dword v8, v[6:7], off
	s_waitcnt vmcnt(0)
	v_fmac_f32_e32 v9, s30, v8
	global_store_dword v[6:7], v9, off
.LBB75_24:                              ;   in Loop: Header=BB75_9 Depth=1
	s_mov_b64 s[12:13], 0
.LBB75_25:                              ;   in Loop: Header=BB75_9 Depth=1
	s_andn2_b64 vcc, exec, s[12:13]
	s_cbranch_vccnz .LBB75_8
; %bb.26:                               ;   in Loop: Header=BB75_9 Depth=1
	v_mul_f32_e32 v6, s28, v23
	s_mov_b64 s[12:13], -1
	s_and_b64 vcc, exec, s[8:9]
	s_cbranch_vccz .LBB75_28
; %bb.27:                               ;   in Loop: Header=BB75_9 Depth=1
	v_lshlrev_b64 v[7:8], 2, v[4:5]
	s_mov_b64 s[12:13], 0
	v_add_co_u32_e32 v7, vcc, v18, v7
	v_addc_co_u32_e32 v8, vcc, v19, v8, vcc
	global_store_dword v[7:8], v6, off
.LBB75_28:                              ;   in Loop: Header=BB75_9 Depth=1
	s_andn2_b64 vcc, exec, s[12:13]
	s_cbranch_vccnz .LBB75_8
; %bb.29:                               ;   in Loop: Header=BB75_9 Depth=1
	v_mul_lo_u32 v7, s27, v4
	v_mul_lo_u32 v8, s26, v5
	v_mad_u64_u32 v[4:5], s[12:13], s26, v4, 0
	v_add3_u32 v5, v5, v8, v7
	v_lshlrev_b64 v[4:5], 2, v[4:5]
	v_add_co_u32_e32 v4, vcc, v14, v4
	v_addc_co_u32_e32 v5, vcc, v15, v5, vcc
	global_store_dword v[4:5], v6, off
	s_branch .LBB75_8
.LBB75_30:
	s_endpgm
	.section	.rodata,"a",@progbits
	.p2align	6, 0x0
	.amdhsa_kernel _ZN9rocsparseL29bsrmmnt_small_blockdim_kernelILj64ELj32ELj2EliDF16_DF16_ffEEv20rocsparse_direction_T3_S2_llNS_24const_host_device_scalarIT7_EEPKT2_PKS2_PKT4_PKT5_llS5_PT6_ll16rocsparse_order_21rocsparse_index_base_b
		.amdhsa_group_segment_fixed_size 640
		.amdhsa_private_segment_fixed_size 0
		.amdhsa_kernarg_size 392
		.amdhsa_user_sgpr_count 6
		.amdhsa_user_sgpr_private_segment_buffer 1
		.amdhsa_user_sgpr_dispatch_ptr 0
		.amdhsa_user_sgpr_queue_ptr 0
		.amdhsa_user_sgpr_kernarg_segment_ptr 1
		.amdhsa_user_sgpr_dispatch_id 0
		.amdhsa_user_sgpr_flat_scratch_init 0
		.amdhsa_user_sgpr_private_segment_size 0
		.amdhsa_uses_dynamic_stack 0
		.amdhsa_system_sgpr_private_segment_wavefront_offset 0
		.amdhsa_system_sgpr_workgroup_id_x 1
		.amdhsa_system_sgpr_workgroup_id_y 0
		.amdhsa_system_sgpr_workgroup_id_z 0
		.amdhsa_system_sgpr_workgroup_info 0
		.amdhsa_system_vgpr_workitem_id 0
		.amdhsa_next_free_vgpr 31
		.amdhsa_next_free_sgpr 32
		.amdhsa_reserve_vcc 1
		.amdhsa_reserve_flat_scratch 0
		.amdhsa_float_round_mode_32 0
		.amdhsa_float_round_mode_16_64 0
		.amdhsa_float_denorm_mode_32 3
		.amdhsa_float_denorm_mode_16_64 3
		.amdhsa_dx10_clamp 1
		.amdhsa_ieee_mode 1
		.amdhsa_fp16_overflow 0
		.amdhsa_exception_fp_ieee_invalid_op 0
		.amdhsa_exception_fp_denorm_src 0
		.amdhsa_exception_fp_ieee_div_zero 0
		.amdhsa_exception_fp_ieee_overflow 0
		.amdhsa_exception_fp_ieee_underflow 0
		.amdhsa_exception_fp_ieee_inexact 0
		.amdhsa_exception_int_div_zero 0
	.end_amdhsa_kernel
	.section	.text._ZN9rocsparseL29bsrmmnt_small_blockdim_kernelILj64ELj32ELj2EliDF16_DF16_ffEEv20rocsparse_direction_T3_S2_llNS_24const_host_device_scalarIT7_EEPKT2_PKS2_PKT4_PKT5_llS5_PT6_ll16rocsparse_order_21rocsparse_index_base_b,"axG",@progbits,_ZN9rocsparseL29bsrmmnt_small_blockdim_kernelILj64ELj32ELj2EliDF16_DF16_ffEEv20rocsparse_direction_T3_S2_llNS_24const_host_device_scalarIT7_EEPKT2_PKS2_PKT4_PKT5_llS5_PT6_ll16rocsparse_order_21rocsparse_index_base_b,comdat
.Lfunc_end75:
	.size	_ZN9rocsparseL29bsrmmnt_small_blockdim_kernelILj64ELj32ELj2EliDF16_DF16_ffEEv20rocsparse_direction_T3_S2_llNS_24const_host_device_scalarIT7_EEPKT2_PKS2_PKT4_PKT5_llS5_PT6_ll16rocsparse_order_21rocsparse_index_base_b, .Lfunc_end75-_ZN9rocsparseL29bsrmmnt_small_blockdim_kernelILj64ELj32ELj2EliDF16_DF16_ffEEv20rocsparse_direction_T3_S2_llNS_24const_host_device_scalarIT7_EEPKT2_PKS2_PKT4_PKT5_llS5_PT6_ll16rocsparse_order_21rocsparse_index_base_b
                                        ; -- End function
	.set _ZN9rocsparseL29bsrmmnt_small_blockdim_kernelILj64ELj32ELj2EliDF16_DF16_ffEEv20rocsparse_direction_T3_S2_llNS_24const_host_device_scalarIT7_EEPKT2_PKS2_PKT4_PKT5_llS5_PT6_ll16rocsparse_order_21rocsparse_index_base_b.num_vgpr, 31
	.set _ZN9rocsparseL29bsrmmnt_small_blockdim_kernelILj64ELj32ELj2EliDF16_DF16_ffEEv20rocsparse_direction_T3_S2_llNS_24const_host_device_scalarIT7_EEPKT2_PKS2_PKT4_PKT5_llS5_PT6_ll16rocsparse_order_21rocsparse_index_base_b.num_agpr, 0
	.set _ZN9rocsparseL29bsrmmnt_small_blockdim_kernelILj64ELj32ELj2EliDF16_DF16_ffEEv20rocsparse_direction_T3_S2_llNS_24const_host_device_scalarIT7_EEPKT2_PKS2_PKT4_PKT5_llS5_PT6_ll16rocsparse_order_21rocsparse_index_base_b.numbered_sgpr, 32
	.set _ZN9rocsparseL29bsrmmnt_small_blockdim_kernelILj64ELj32ELj2EliDF16_DF16_ffEEv20rocsparse_direction_T3_S2_llNS_24const_host_device_scalarIT7_EEPKT2_PKS2_PKT4_PKT5_llS5_PT6_ll16rocsparse_order_21rocsparse_index_base_b.num_named_barrier, 0
	.set _ZN9rocsparseL29bsrmmnt_small_blockdim_kernelILj64ELj32ELj2EliDF16_DF16_ffEEv20rocsparse_direction_T3_S2_llNS_24const_host_device_scalarIT7_EEPKT2_PKS2_PKT4_PKT5_llS5_PT6_ll16rocsparse_order_21rocsparse_index_base_b.private_seg_size, 0
	.set _ZN9rocsparseL29bsrmmnt_small_blockdim_kernelILj64ELj32ELj2EliDF16_DF16_ffEEv20rocsparse_direction_T3_S2_llNS_24const_host_device_scalarIT7_EEPKT2_PKS2_PKT4_PKT5_llS5_PT6_ll16rocsparse_order_21rocsparse_index_base_b.uses_vcc, 1
	.set _ZN9rocsparseL29bsrmmnt_small_blockdim_kernelILj64ELj32ELj2EliDF16_DF16_ffEEv20rocsparse_direction_T3_S2_llNS_24const_host_device_scalarIT7_EEPKT2_PKS2_PKT4_PKT5_llS5_PT6_ll16rocsparse_order_21rocsparse_index_base_b.uses_flat_scratch, 0
	.set _ZN9rocsparseL29bsrmmnt_small_blockdim_kernelILj64ELj32ELj2EliDF16_DF16_ffEEv20rocsparse_direction_T3_S2_llNS_24const_host_device_scalarIT7_EEPKT2_PKS2_PKT4_PKT5_llS5_PT6_ll16rocsparse_order_21rocsparse_index_base_b.has_dyn_sized_stack, 0
	.set _ZN9rocsparseL29bsrmmnt_small_blockdim_kernelILj64ELj32ELj2EliDF16_DF16_ffEEv20rocsparse_direction_T3_S2_llNS_24const_host_device_scalarIT7_EEPKT2_PKS2_PKT4_PKT5_llS5_PT6_ll16rocsparse_order_21rocsparse_index_base_b.has_recursion, 0
	.set _ZN9rocsparseL29bsrmmnt_small_blockdim_kernelILj64ELj32ELj2EliDF16_DF16_ffEEv20rocsparse_direction_T3_S2_llNS_24const_host_device_scalarIT7_EEPKT2_PKS2_PKT4_PKT5_llS5_PT6_ll16rocsparse_order_21rocsparse_index_base_b.has_indirect_call, 0
	.section	.AMDGPU.csdata,"",@progbits
; Kernel info:
; codeLenInByte = 1436
; TotalNumSgprs: 36
; NumVgprs: 31
; ScratchSize: 0
; MemoryBound: 0
; FloatMode: 240
; IeeeMode: 1
; LDSByteSize: 640 bytes/workgroup (compile time only)
; SGPRBlocks: 4
; VGPRBlocks: 7
; NumSGPRsForWavesPerEU: 36
; NumVGPRsForWavesPerEU: 31
; Occupancy: 8
; WaveLimiterHint : 0
; COMPUTE_PGM_RSRC2:SCRATCH_EN: 0
; COMPUTE_PGM_RSRC2:USER_SGPR: 6
; COMPUTE_PGM_RSRC2:TRAP_HANDLER: 0
; COMPUTE_PGM_RSRC2:TGID_X_EN: 1
; COMPUTE_PGM_RSRC2:TGID_Y_EN: 0
; COMPUTE_PGM_RSRC2:TGID_Z_EN: 0
; COMPUTE_PGM_RSRC2:TIDIG_COMP_CNT: 0
	.section	.text._ZN9rocsparseL29bsrmmnt_small_blockdim_kernelILj64ELj64ELj2EliDF16_DF16_ffEEv20rocsparse_direction_T3_S2_llNS_24const_host_device_scalarIT7_EEPKT2_PKS2_PKT4_PKT5_llS5_PT6_ll16rocsparse_order_21rocsparse_index_base_b,"axG",@progbits,_ZN9rocsparseL29bsrmmnt_small_blockdim_kernelILj64ELj64ELj2EliDF16_DF16_ffEEv20rocsparse_direction_T3_S2_llNS_24const_host_device_scalarIT7_EEPKT2_PKS2_PKT4_PKT5_llS5_PT6_ll16rocsparse_order_21rocsparse_index_base_b,comdat
	.globl	_ZN9rocsparseL29bsrmmnt_small_blockdim_kernelILj64ELj64ELj2EliDF16_DF16_ffEEv20rocsparse_direction_T3_S2_llNS_24const_host_device_scalarIT7_EEPKT2_PKS2_PKT4_PKT5_llS5_PT6_ll16rocsparse_order_21rocsparse_index_base_b ; -- Begin function _ZN9rocsparseL29bsrmmnt_small_blockdim_kernelILj64ELj64ELj2EliDF16_DF16_ffEEv20rocsparse_direction_T3_S2_llNS_24const_host_device_scalarIT7_EEPKT2_PKS2_PKT4_PKT5_llS5_PT6_ll16rocsparse_order_21rocsparse_index_base_b
	.p2align	8
	.type	_ZN9rocsparseL29bsrmmnt_small_blockdim_kernelILj64ELj64ELj2EliDF16_DF16_ffEEv20rocsparse_direction_T3_S2_llNS_24const_host_device_scalarIT7_EEPKT2_PKS2_PKT4_PKT5_llS5_PT6_ll16rocsparse_order_21rocsparse_index_base_b,@function
_ZN9rocsparseL29bsrmmnt_small_blockdim_kernelILj64ELj64ELj2EliDF16_DF16_ffEEv20rocsparse_direction_T3_S2_llNS_24const_host_device_scalarIT7_EEPKT2_PKS2_PKT4_PKT5_llS5_PT6_ll16rocsparse_order_21rocsparse_index_base_b: ; @_ZN9rocsparseL29bsrmmnt_small_blockdim_kernelILj64ELj64ELj2EliDF16_DF16_ffEEv20rocsparse_direction_T3_S2_llNS_24const_host_device_scalarIT7_EEPKT2_PKS2_PKT4_PKT5_llS5_PT6_ll16rocsparse_order_21rocsparse_index_base_b
; %bb.0:
	s_load_dwordx4 s[16:19], s[4:5], 0x78
	s_load_dwordx2 s[28:29], s[4:5], 0x20
	s_load_dwordx2 s[30:31], s[4:5], 0x58
	s_waitcnt lgkmcnt(0)
	s_bitcmp1_b32 s18, 0
	s_cselect_b64 s[2:3], -1, 0
	s_xor_b64 s[0:1], s[2:3], -1
	s_and_b64 vcc, exec, s[2:3]
	s_cbranch_vccnz .LBB76_2
; %bb.1:
	s_load_dword s28, s[28:29], 0x0
.LBB76_2:
	s_andn2_b64 vcc, exec, s[0:1]
	s_cbranch_vccnz .LBB76_4
; %bb.3:
	s_load_dword s30, s[30:31], 0x0
.LBB76_4:
	s_waitcnt lgkmcnt(0)
	v_cmp_eq_f32_e64 s[0:1], s28, 0
	v_cmp_eq_f32_e64 s[2:3], s30, 1.0
	s_and_b64 s[0:1], s[0:1], s[2:3]
	s_and_b64 vcc, exec, s[0:1]
	s_cbranch_vccnz .LBB76_30
; %bb.5:
	s_load_dword s0, s[4:5], 0x94
	s_load_dwordx4 s[20:23], s[4:5], 0x0
	s_waitcnt lgkmcnt(0)
	s_and_b32 s0, s0, 0xffff
	s_mul_i32 s6, s6, s0
	v_add_u32_e32 v1, s6, v0
	v_lshrrev_b32_e32 v2, 7, v1
	v_cmp_gt_i32_e32 vcc, s21, v2
	s_and_saveexec_b64 s[0:1], vcc
	s_cbranch_execz .LBB76_30
; %bb.6:
	s_cmp_lt_i32 s22, 1
	s_cbranch_scc1 .LBB76_30
; %bb.7:
	s_load_dwordx8 s[8:15], s[4:5], 0x28
	v_lshlrev_b32_e32 v2, 3, v2
	s_cmp_lg_u32 s16, 1
	v_lshrrev_b32_e32 v3, 6, v1
	v_bfe_u32 v1, v1, 6, 1
	s_waitcnt lgkmcnt(0)
	global_load_dwordx4 v[5:8], v2, s[8:9]
	s_load_dwordx4 s[24:27], s[4:5], 0x60
	s_load_dwordx2 s[6:7], s[4:5], 0x48
	s_cselect_b64 s[8:9], -1, 0
	s_cmp_eq_u32 s20, 0
	s_cselect_b64 s[2:3], -1, 0
	v_cndmask_b32_e64 v2, 0, 1, s[2:3]
	v_lshlrev_b32_e32 v1, v2, v1
	v_lshlrev_b32_e32 v9, 1, v1
	s_waitcnt lgkmcnt(0)
	v_mad_u64_u32 v[1:2], s[0:1], s26, v3, 0
	v_lshlrev_b32_e32 v4, 2, v3
	v_mov_b32_e32 v15, s25
	v_mad_u64_u32 v[2:3], s[0:1], s27, v3, v[2:3]
	v_add_co_u32_e32 v14, vcc, s24, v4
	v_addc_co_u32_e32 v15, vcc, 0, v15, vcc
	v_mov_b32_e32 v17, s13
	v_add_co_u32_e32 v16, vcc, s12, v9
	v_lshlrev_b64 v[1:2], 2, v[1:2]
	v_addc_co_u32_e32 v17, vcc, 0, v17, vcc
	v_mov_b32_e32 v10, s25
	v_add_co_u32_e32 v18, vcc, s24, v1
	v_addc_co_u32_e32 v19, vcc, v10, v2, vcc
	v_mov_b32_e32 v11, 0x180
	s_and_b64 s[2:3], s[2:3], exec
	s_mov_b32 s23, 0
	v_mul_u32_u24_e32 v12, 6, v0
	v_cmp_neq_f32_e64 s[4:5], s30, 0
	v_lshl_add_u32 v13, v0, 2, v11
	s_cselect_b32 s16, 2, 4
	s_waitcnt vmcnt(0)
	v_subrev_co_u32_e32 v1, vcc, s17, v5
	v_subbrev_co_u32_e32 v2, vcc, 0, v6, vcc
	v_subrev_co_u32_e32 v3, vcc, s17, v7
	v_cmp_lt_i64_e64 s[0:1], v[5:6], v[7:8]
	v_subbrev_co_u32_e32 v4, vcc, 0, v8, vcc
	s_branch .LBB76_9
.LBB76_8:                               ;   in Loop: Header=BB76_9 Depth=1
	s_or_b64 exec, exec, s[2:3]
	s_add_i32 s23, s23, 64
	s_cmp_lt_i32 s23, s22
	s_cbranch_scc0 .LBB76_30
.LBB76_9:                               ; =>This Loop Header: Depth=1
                                        ;     Child Loop BB76_12 Depth 2
                                        ;       Child Loop BB76_16 Depth 3
	v_or_b32_e32 v5, s23, v0
	v_ashrrev_i32_e32 v6, 31, v5
	v_mov_b32_e32 v22, 0
	s_and_saveexec_b64 s[12:13], s[0:1]
	s_cbranch_execz .LBB76_18
; %bb.10:                               ;   in Loop: Header=BB76_9 Depth=1
	v_lshlrev_b64 v[7:8], 1, v[5:6]
	v_mov_b32_e32 v9, s15
	v_add_co_u32_e64 v20, s[2:3], s14, v7
	v_addc_co_u32_e64 v21, s[2:3], v9, v8, s[2:3]
	v_mov_b32_e32 v8, v2
	v_cmp_gt_i32_e32 vcc, s22, v5
	v_mov_b32_e32 v22, 0
	s_mov_b64 s[18:19], 0
	v_mov_b32_e32 v7, v1
	s_branch .LBB76_12
.LBB76_11:                              ;   in Loop: Header=BB76_12 Depth=2
	s_or_b64 exec, exec, s[20:21]
	v_add_co_u32_e64 v7, s[2:3], 64, v7
	v_addc_co_u32_e64 v8, s[2:3], 0, v8, s[2:3]
	v_cmp_ge_i64_e64 s[2:3], v[7:8], v[3:4]
	s_or_b64 s[18:19], s[2:3], s[18:19]
	s_andn2_b64 exec, exec, s[18:19]
	s_cbranch_execz .LBB76_17
.LBB76_12:                              ;   Parent Loop BB76_9 Depth=1
                                        ; =>  This Loop Header: Depth=2
                                        ;       Child Loop BB76_16 Depth 3
	v_add_co_u32_e64 v9, s[2:3], v7, v0
	v_addc_co_u32_e64 v10, s[2:3], 0, v8, s[2:3]
	v_cmp_lt_i64_e64 s[2:3], v[9:10], v[3:4]
	v_mov_b32_e32 v25, 0
	v_mov_b32_e32 v23, 0
	v_mov_b32_e32 v24, 0
	s_and_saveexec_b64 s[20:21], s[2:3]
	s_cbranch_execz .LBB76_14
; %bb.13:                               ;   in Loop: Header=BB76_12 Depth=2
	v_lshlrev_b64 v[23:24], 2, v[9:10]
	v_mov_b32_e32 v25, s11
	v_add_co_u32_e64 v23, s[2:3], s10, v23
	v_lshlrev_b64 v[9:10], 3, v[9:10]
	v_addc_co_u32_e64 v24, s[2:3], v25, v24, s[2:3]
	v_add_co_u32_e64 v9, s[2:3], v16, v9
	global_load_dword v27, v[23:24], off
	v_addc_co_u32_e64 v10, s[2:3], v17, v10, s[2:3]
	v_add_co_u32_e64 v25, s[2:3], s16, v9
	v_addc_co_u32_e64 v26, s[2:3], 0, v10, s[2:3]
	global_load_ushort v23, v[9:10], off
	global_load_ushort v24, v[25:26], off
	s_waitcnt vmcnt(2)
	v_subrev_u32_e32 v9, s17, v27
	v_lshlrev_b32_e32 v25, 1, v9
.LBB76_14:                              ;   in Loop: Header=BB76_12 Depth=2
	s_or_b64 exec, exec, s[20:21]
	ds_write_b32 v13, v25
	s_waitcnt vmcnt(1)
	ds_write_b16 v12, v23
	s_waitcnt vmcnt(0)
	ds_write_b16 v12, v24 offset:2
	s_waitcnt lgkmcnt(0)
	; wave barrier
	s_and_saveexec_b64 s[20:21], vcc
	s_cbranch_execz .LBB76_11
; %bb.15:                               ;   in Loop: Header=BB76_12 Depth=2
	s_mov_b32 s24, 0
	v_mov_b32_e32 v9, 0
.LBB76_16:                              ;   Parent Loop BB76_9 Depth=1
                                        ;     Parent Loop BB76_12 Depth=2
                                        ; =>    This Inner Loop Header: Depth=3
	v_add_u32_e32 v10, s24, v11
	ds_read_b64 v[23:24], v10
	s_add_i32 s24, s24, 8
	s_cmpk_lg_i32 s24, 0x100
	s_waitcnt lgkmcnt(0)
	v_ashrrev_i32_e32 v10, 31, v23
	v_mul_lo_u32 v10, s6, v10
	v_mul_lo_u32 v27, s7, v23
	v_mad_u64_u32 v[25:26], s[2:3], s6, v23, 0
	v_add3_u32 v26, v26, v10, v27
	v_lshlrev_b64 v[25:26], 1, v[25:26]
	v_add_co_u32_e64 v25, s[2:3], v20, v25
	v_addc_co_u32_e64 v26, s[2:3], v21, v26, s[2:3]
	global_load_ushort v10, v[25:26], off
	ds_read_b32 v25, v9
	ds_read_u16 v26, v9 offset:6
	ds_read_u16 v27, v9 offset:8
	v_add_u32_e32 v9, 12, v9
	s_waitcnt vmcnt(0) lgkmcnt(2)
	v_fma_mix_f32 v10, v25, v10, v22 op_sel_hi:[1,1,0]
	v_add_u32_e32 v22, 1, v23
	v_ashrrev_i32_e32 v23, 31, v22
	v_mul_lo_u32 v28, s6, v23
	v_mul_lo_u32 v29, s7, v22
	v_mad_u64_u32 v[22:23], s[2:3], s6, v22, 0
	v_add3_u32 v23, v23, v28, v29
	v_lshlrev_b64 v[22:23], 1, v[22:23]
	v_mul_lo_u32 v28, s7, v24
	v_add_co_u32_e64 v22, s[2:3], v20, v22
	v_addc_co_u32_e64 v23, s[2:3], v21, v23, s[2:3]
	global_load_ushort v22, v[22:23], off
	s_waitcnt vmcnt(0)
	v_fma_mix_f32 v10, v25, v22, v10 op_sel:[1,0,0] op_sel_hi:[1,1,0]
	v_ashrrev_i32_e32 v22, 31, v24
	v_mul_lo_u32 v25, s6, v22
	v_mad_u64_u32 v[22:23], s[2:3], s6, v24, 0
	v_add3_u32 v23, v23, v25, v28
	v_lshlrev_b64 v[22:23], 1, v[22:23]
	v_add_co_u32_e64 v22, s[2:3], v20, v22
	v_addc_co_u32_e64 v23, s[2:3], v21, v23, s[2:3]
	global_load_ushort v22, v[22:23], off
	s_waitcnt vmcnt(0) lgkmcnt(1)
	v_fma_mix_f32 v10, v26, v22, v10 op_sel_hi:[1,1,0]
	v_add_u32_e32 v22, 1, v24
	v_ashrrev_i32_e32 v23, 31, v22
	v_mul_lo_u32 v24, s6, v23
	v_mul_lo_u32 v25, s7, v22
	v_mad_u64_u32 v[22:23], s[2:3], s6, v22, 0
	v_add3_u32 v23, v23, v24, v25
	v_lshlrev_b64 v[22:23], 1, v[22:23]
	v_add_co_u32_e64 v22, s[2:3], v20, v22
	v_addc_co_u32_e64 v23, s[2:3], v21, v23, s[2:3]
	global_load_ushort v22, v[22:23], off
	s_waitcnt vmcnt(0) lgkmcnt(0)
	v_fma_mix_f32 v22, v27, v22, v10 op_sel_hi:[1,1,0]
	s_cbranch_scc1 .LBB76_16
	s_branch .LBB76_11
.LBB76_17:                              ;   in Loop: Header=BB76_9 Depth=1
	s_or_b64 exec, exec, s[18:19]
.LBB76_18:                              ;   in Loop: Header=BB76_9 Depth=1
	s_or_b64 exec, exec, s[12:13]
	v_cmp_gt_i32_e32 vcc, s22, v5
	s_and_saveexec_b64 s[2:3], vcc
	s_cbranch_execz .LBB76_8
; %bb.19:                               ;   in Loop: Header=BB76_9 Depth=1
	s_mov_b64 s[12:13], -1
	s_and_b64 vcc, exec, s[4:5]
	s_cbranch_vccz .LBB76_25
; %bb.20:                               ;   in Loop: Header=BB76_9 Depth=1
	s_and_b64 vcc, exec, s[8:9]
	s_cbranch_vccz .LBB76_22
; %bb.21:                               ;   in Loop: Header=BB76_9 Depth=1
	v_lshlrev_b64 v[7:8], 2, v[5:6]
	v_mul_f32_e32 v10, s28, v22
	v_add_co_u32_e32 v7, vcc, v18, v7
	v_addc_co_u32_e32 v8, vcc, v19, v8, vcc
	global_load_dword v9, v[7:8], off
	s_mov_b64 s[12:13], 0
	s_waitcnt vmcnt(0)
	v_fmac_f32_e32 v10, s30, v9
	global_store_dword v[7:8], v10, off
.LBB76_22:                              ;   in Loop: Header=BB76_9 Depth=1
	s_andn2_b64 vcc, exec, s[12:13]
	s_cbranch_vccnz .LBB76_24
; %bb.23:                               ;   in Loop: Header=BB76_9 Depth=1
	v_mul_lo_u32 v9, s27, v5
	v_mul_lo_u32 v10, s26, v6
	v_mad_u64_u32 v[7:8], s[12:13], s26, v5, 0
	v_add3_u32 v8, v8, v10, v9
	v_lshlrev_b64 v[7:8], 2, v[7:8]
	v_mul_f32_e32 v10, s28, v22
	v_add_co_u32_e32 v7, vcc, v14, v7
	v_addc_co_u32_e32 v8, vcc, v15, v8, vcc
	global_load_dword v9, v[7:8], off
	s_waitcnt vmcnt(0)
	v_fmac_f32_e32 v10, s30, v9
	global_store_dword v[7:8], v10, off
.LBB76_24:                              ;   in Loop: Header=BB76_9 Depth=1
	s_mov_b64 s[12:13], 0
.LBB76_25:                              ;   in Loop: Header=BB76_9 Depth=1
	s_andn2_b64 vcc, exec, s[12:13]
	s_cbranch_vccnz .LBB76_8
; %bb.26:                               ;   in Loop: Header=BB76_9 Depth=1
	v_mul_f32_e32 v7, s28, v22
	s_mov_b64 s[12:13], -1
	s_and_b64 vcc, exec, s[8:9]
	s_cbranch_vccz .LBB76_28
; %bb.27:                               ;   in Loop: Header=BB76_9 Depth=1
	v_lshlrev_b64 v[8:9], 2, v[5:6]
	s_mov_b64 s[12:13], 0
	v_add_co_u32_e32 v8, vcc, v18, v8
	v_addc_co_u32_e32 v9, vcc, v19, v9, vcc
	global_store_dword v[8:9], v7, off
.LBB76_28:                              ;   in Loop: Header=BB76_9 Depth=1
	s_andn2_b64 vcc, exec, s[12:13]
	s_cbranch_vccnz .LBB76_8
; %bb.29:                               ;   in Loop: Header=BB76_9 Depth=1
	v_mul_lo_u32 v8, s27, v5
	v_mul_lo_u32 v9, s26, v6
	v_mad_u64_u32 v[5:6], s[12:13], s26, v5, 0
	v_add3_u32 v6, v6, v9, v8
	v_lshlrev_b64 v[5:6], 2, v[5:6]
	v_add_co_u32_e32 v5, vcc, v14, v5
	v_addc_co_u32_e32 v6, vcc, v15, v6, vcc
	global_store_dword v[5:6], v7, off
	s_branch .LBB76_8
.LBB76_30:
	s_endpgm
	.section	.rodata,"a",@progbits
	.p2align	6, 0x0
	.amdhsa_kernel _ZN9rocsparseL29bsrmmnt_small_blockdim_kernelILj64ELj64ELj2EliDF16_DF16_ffEEv20rocsparse_direction_T3_S2_llNS_24const_host_device_scalarIT7_EEPKT2_PKS2_PKT4_PKT5_llS5_PT6_ll16rocsparse_order_21rocsparse_index_base_b
		.amdhsa_group_segment_fixed_size 640
		.amdhsa_private_segment_fixed_size 0
		.amdhsa_kernarg_size 392
		.amdhsa_user_sgpr_count 6
		.amdhsa_user_sgpr_private_segment_buffer 1
		.amdhsa_user_sgpr_dispatch_ptr 0
		.amdhsa_user_sgpr_queue_ptr 0
		.amdhsa_user_sgpr_kernarg_segment_ptr 1
		.amdhsa_user_sgpr_dispatch_id 0
		.amdhsa_user_sgpr_flat_scratch_init 0
		.amdhsa_user_sgpr_private_segment_size 0
		.amdhsa_uses_dynamic_stack 0
		.amdhsa_system_sgpr_private_segment_wavefront_offset 0
		.amdhsa_system_sgpr_workgroup_id_x 1
		.amdhsa_system_sgpr_workgroup_id_y 0
		.amdhsa_system_sgpr_workgroup_id_z 0
		.amdhsa_system_sgpr_workgroup_info 0
		.amdhsa_system_vgpr_workitem_id 0
		.amdhsa_next_free_vgpr 30
		.amdhsa_next_free_sgpr 32
		.amdhsa_reserve_vcc 1
		.amdhsa_reserve_flat_scratch 0
		.amdhsa_float_round_mode_32 0
		.amdhsa_float_round_mode_16_64 0
		.amdhsa_float_denorm_mode_32 3
		.amdhsa_float_denorm_mode_16_64 3
		.amdhsa_dx10_clamp 1
		.amdhsa_ieee_mode 1
		.amdhsa_fp16_overflow 0
		.amdhsa_exception_fp_ieee_invalid_op 0
		.amdhsa_exception_fp_denorm_src 0
		.amdhsa_exception_fp_ieee_div_zero 0
		.amdhsa_exception_fp_ieee_overflow 0
		.amdhsa_exception_fp_ieee_underflow 0
		.amdhsa_exception_fp_ieee_inexact 0
		.amdhsa_exception_int_div_zero 0
	.end_amdhsa_kernel
	.section	.text._ZN9rocsparseL29bsrmmnt_small_blockdim_kernelILj64ELj64ELj2EliDF16_DF16_ffEEv20rocsparse_direction_T3_S2_llNS_24const_host_device_scalarIT7_EEPKT2_PKS2_PKT4_PKT5_llS5_PT6_ll16rocsparse_order_21rocsparse_index_base_b,"axG",@progbits,_ZN9rocsparseL29bsrmmnt_small_blockdim_kernelILj64ELj64ELj2EliDF16_DF16_ffEEv20rocsparse_direction_T3_S2_llNS_24const_host_device_scalarIT7_EEPKT2_PKS2_PKT4_PKT5_llS5_PT6_ll16rocsparse_order_21rocsparse_index_base_b,comdat
.Lfunc_end76:
	.size	_ZN9rocsparseL29bsrmmnt_small_blockdim_kernelILj64ELj64ELj2EliDF16_DF16_ffEEv20rocsparse_direction_T3_S2_llNS_24const_host_device_scalarIT7_EEPKT2_PKS2_PKT4_PKT5_llS5_PT6_ll16rocsparse_order_21rocsparse_index_base_b, .Lfunc_end76-_ZN9rocsparseL29bsrmmnt_small_blockdim_kernelILj64ELj64ELj2EliDF16_DF16_ffEEv20rocsparse_direction_T3_S2_llNS_24const_host_device_scalarIT7_EEPKT2_PKS2_PKT4_PKT5_llS5_PT6_ll16rocsparse_order_21rocsparse_index_base_b
                                        ; -- End function
	.set _ZN9rocsparseL29bsrmmnt_small_blockdim_kernelILj64ELj64ELj2EliDF16_DF16_ffEEv20rocsparse_direction_T3_S2_llNS_24const_host_device_scalarIT7_EEPKT2_PKS2_PKT4_PKT5_llS5_PT6_ll16rocsparse_order_21rocsparse_index_base_b.num_vgpr, 30
	.set _ZN9rocsparseL29bsrmmnt_small_blockdim_kernelILj64ELj64ELj2EliDF16_DF16_ffEEv20rocsparse_direction_T3_S2_llNS_24const_host_device_scalarIT7_EEPKT2_PKS2_PKT4_PKT5_llS5_PT6_ll16rocsparse_order_21rocsparse_index_base_b.num_agpr, 0
	.set _ZN9rocsparseL29bsrmmnt_small_blockdim_kernelILj64ELj64ELj2EliDF16_DF16_ffEEv20rocsparse_direction_T3_S2_llNS_24const_host_device_scalarIT7_EEPKT2_PKS2_PKT4_PKT5_llS5_PT6_ll16rocsparse_order_21rocsparse_index_base_b.numbered_sgpr, 32
	.set _ZN9rocsparseL29bsrmmnt_small_blockdim_kernelILj64ELj64ELj2EliDF16_DF16_ffEEv20rocsparse_direction_T3_S2_llNS_24const_host_device_scalarIT7_EEPKT2_PKS2_PKT4_PKT5_llS5_PT6_ll16rocsparse_order_21rocsparse_index_base_b.num_named_barrier, 0
	.set _ZN9rocsparseL29bsrmmnt_small_blockdim_kernelILj64ELj64ELj2EliDF16_DF16_ffEEv20rocsparse_direction_T3_S2_llNS_24const_host_device_scalarIT7_EEPKT2_PKS2_PKT4_PKT5_llS5_PT6_ll16rocsparse_order_21rocsparse_index_base_b.private_seg_size, 0
	.set _ZN9rocsparseL29bsrmmnt_small_blockdim_kernelILj64ELj64ELj2EliDF16_DF16_ffEEv20rocsparse_direction_T3_S2_llNS_24const_host_device_scalarIT7_EEPKT2_PKS2_PKT4_PKT5_llS5_PT6_ll16rocsparse_order_21rocsparse_index_base_b.uses_vcc, 1
	.set _ZN9rocsparseL29bsrmmnt_small_blockdim_kernelILj64ELj64ELj2EliDF16_DF16_ffEEv20rocsparse_direction_T3_S2_llNS_24const_host_device_scalarIT7_EEPKT2_PKS2_PKT4_PKT5_llS5_PT6_ll16rocsparse_order_21rocsparse_index_base_b.uses_flat_scratch, 0
	.set _ZN9rocsparseL29bsrmmnt_small_blockdim_kernelILj64ELj64ELj2EliDF16_DF16_ffEEv20rocsparse_direction_T3_S2_llNS_24const_host_device_scalarIT7_EEPKT2_PKS2_PKT4_PKT5_llS5_PT6_ll16rocsparse_order_21rocsparse_index_base_b.has_dyn_sized_stack, 0
	.set _ZN9rocsparseL29bsrmmnt_small_blockdim_kernelILj64ELj64ELj2EliDF16_DF16_ffEEv20rocsparse_direction_T3_S2_llNS_24const_host_device_scalarIT7_EEPKT2_PKS2_PKT4_PKT5_llS5_PT6_ll16rocsparse_order_21rocsparse_index_base_b.has_recursion, 0
	.set _ZN9rocsparseL29bsrmmnt_small_blockdim_kernelILj64ELj64ELj2EliDF16_DF16_ffEEv20rocsparse_direction_T3_S2_llNS_24const_host_device_scalarIT7_EEPKT2_PKS2_PKT4_PKT5_llS5_PT6_ll16rocsparse_order_21rocsparse_index_base_b.has_indirect_call, 0
	.section	.AMDGPU.csdata,"",@progbits
; Kernel info:
; codeLenInByte = 1408
; TotalNumSgprs: 36
; NumVgprs: 30
; ScratchSize: 0
; MemoryBound: 0
; FloatMode: 240
; IeeeMode: 1
; LDSByteSize: 640 bytes/workgroup (compile time only)
; SGPRBlocks: 4
; VGPRBlocks: 7
; NumSGPRsForWavesPerEU: 36
; NumVGPRsForWavesPerEU: 30
; Occupancy: 8
; WaveLimiterHint : 0
; COMPUTE_PGM_RSRC2:SCRATCH_EN: 0
; COMPUTE_PGM_RSRC2:USER_SGPR: 6
; COMPUTE_PGM_RSRC2:TRAP_HANDLER: 0
; COMPUTE_PGM_RSRC2:TGID_X_EN: 1
; COMPUTE_PGM_RSRC2:TGID_Y_EN: 0
; COMPUTE_PGM_RSRC2:TGID_Z_EN: 0
; COMPUTE_PGM_RSRC2:TIDIG_COMP_CNT: 0
	.section	.text._ZN9rocsparseL29bsrmmnt_small_blockdim_kernelILj64ELj8ELj2EllDF16_DF16_ffEEv20rocsparse_direction_T3_S2_llNS_24const_host_device_scalarIT7_EEPKT2_PKS2_PKT4_PKT5_llS5_PT6_ll16rocsparse_order_21rocsparse_index_base_b,"axG",@progbits,_ZN9rocsparseL29bsrmmnt_small_blockdim_kernelILj64ELj8ELj2EllDF16_DF16_ffEEv20rocsparse_direction_T3_S2_llNS_24const_host_device_scalarIT7_EEPKT2_PKS2_PKT4_PKT5_llS5_PT6_ll16rocsparse_order_21rocsparse_index_base_b,comdat
	.globl	_ZN9rocsparseL29bsrmmnt_small_blockdim_kernelILj64ELj8ELj2EllDF16_DF16_ffEEv20rocsparse_direction_T3_S2_llNS_24const_host_device_scalarIT7_EEPKT2_PKS2_PKT4_PKT5_llS5_PT6_ll16rocsparse_order_21rocsparse_index_base_b ; -- Begin function _ZN9rocsparseL29bsrmmnt_small_blockdim_kernelILj64ELj8ELj2EllDF16_DF16_ffEEv20rocsparse_direction_T3_S2_llNS_24const_host_device_scalarIT7_EEPKT2_PKS2_PKT4_PKT5_llS5_PT6_ll16rocsparse_order_21rocsparse_index_base_b
	.p2align	8
	.type	_ZN9rocsparseL29bsrmmnt_small_blockdim_kernelILj64ELj8ELj2EllDF16_DF16_ffEEv20rocsparse_direction_T3_S2_llNS_24const_host_device_scalarIT7_EEPKT2_PKS2_PKT4_PKT5_llS5_PT6_ll16rocsparse_order_21rocsparse_index_base_b,@function
_ZN9rocsparseL29bsrmmnt_small_blockdim_kernelILj64ELj8ELj2EllDF16_DF16_ffEEv20rocsparse_direction_T3_S2_llNS_24const_host_device_scalarIT7_EEPKT2_PKS2_PKT4_PKT5_llS5_PT6_ll16rocsparse_order_21rocsparse_index_base_b: ; @_ZN9rocsparseL29bsrmmnt_small_blockdim_kernelILj64ELj8ELj2EllDF16_DF16_ffEEv20rocsparse_direction_T3_S2_llNS_24const_host_device_scalarIT7_EEPKT2_PKS2_PKT4_PKT5_llS5_PT6_ll16rocsparse_order_21rocsparse_index_base_b
; %bb.0:
	s_load_dwordx4 s[0:3], s[4:5], 0x80
	s_load_dwordx2 s[24:25], s[4:5], 0x28
	s_load_dwordx2 s[26:27], s[4:5], 0x60
	s_waitcnt lgkmcnt(0)
	s_bitcmp1_b32 s2, 0
	s_cselect_b64 s[8:9], -1, 0
	s_xor_b64 s[2:3], s[8:9], -1
	s_and_b64 vcc, exec, s[8:9]
	s_cbranch_vccnz .LBB77_2
; %bb.1:
	s_load_dword s24, s[24:25], 0x0
.LBB77_2:
	s_andn2_b64 vcc, exec, s[2:3]
	s_cbranch_vccnz .LBB77_4
; %bb.3:
	s_load_dword s26, s[26:27], 0x0
.LBB77_4:
	s_waitcnt lgkmcnt(0)
	v_cmp_eq_f32_e64 s[2:3], s24, 0
	v_cmp_eq_f32_e64 s[8:9], s26, 1.0
	s_and_b64 s[2:3], s[2:3], s[8:9]
	s_and_b64 vcc, exec, s[2:3]
	s_cbranch_vccnz .LBB77_30
; %bb.5:
	s_load_dword s2, s[4:5], 0x9c
	s_load_dwordx4 s[16:19], s[4:5], 0x8
	v_mov_b32_e32 v2, 0
	s_waitcnt lgkmcnt(0)
	s_and_b32 s2, s2, 0xffff
	s_mul_i32 s6, s6, s2
	v_add_u32_e32 v3, s6, v0
	v_lshrrev_b32_e32 v1, 4, v3
	v_cmp_gt_i64_e32 vcc, s[16:17], v[1:2]
	s_and_saveexec_b64 s[2:3], vcc
	s_cbranch_execz .LBB77_30
; %bb.6:
	v_cmp_lt_i64_e64 s[2:3], s[18:19], 1
	s_and_b64 vcc, exec, s[2:3]
	s_cbranch_vccnz .LBB77_30
; %bb.7:
	s_load_dwordx8 s[8:15], s[4:5], 0x30
	v_lshlrev_b32_e32 v1, 3, v1
	v_and_b32_e32 v12, 7, v0
	v_lshrrev_b32_e32 v0, 3, v0
	v_lshrrev_b32_e32 v2, 3, v3
	s_waitcnt lgkmcnt(0)
	global_load_dwordx4 v[4:7], v1, s[8:9]
	s_load_dword s2, s[4:5], 0x0
	s_load_dwordx4 s[20:23], s[4:5], 0x68
	s_load_dwordx2 s[6:7], s[4:5], 0x50
	v_lshrrev_b32_e32 v1, 2, v3
	s_cmp_lg_u32 s0, 1
	v_lshlrev_b32_e32 v13, 6, v0
	v_mul_u32_u24_e32 v0, 48, v0
	v_and_b32_e32 v3, 2, v1
	s_cselect_b64 s[8:9], -1, 0
	v_or_b32_e32 v14, 0x200, v0
	s_waitcnt lgkmcnt(0)
	s_cmp_eq_u32 s2, 0
	v_mad_u64_u32 v[0:1], s[2:3], v2, s22, 0
	v_mov_b32_e32 v10, s13
	v_add_co_u32_e32 v18, vcc, s12, v3
	v_lshlrev_b32_e32 v9, 2, v2
	v_addc_co_u32_e32 v10, vcc, 0, v10, vcc
	v_mad_u64_u32 v[1:2], s[2:3], v2, s23, v[1:2]
	v_mov_b32_e32 v16, s21
	v_add_co_u32_e32 v15, vcc, s20, v9
	v_addc_co_u32_e32 v16, vcc, 0, v16, vcc
	v_add_co_u32_e32 v3, vcc, v18, v3
	v_addc_co_u32_e32 v9, vcc, 0, v10, vcc
	v_lshlrev_b64 v[0:1], 2, v[0:1]
	s_cselect_b64 vcc, -1, 0
	v_mov_b32_e32 v11, s21
	v_cndmask_b32_e32 v17, v10, v9, vcc
	v_cndmask_b32_e32 v18, v18, v3, vcc
	s_and_b64 s[2:3], vcc, exec
	v_add_co_u32_e32 v19, vcc, s20, v0
	v_addc_co_u32_e32 v20, vcc, v11, v1, vcc
	s_mov_b32 s25, s1
	v_mul_u32_u24_e32 v8, 6, v12
	v_cmp_neq_f32_e64 s[4:5], s26, 0
	s_cselect_b32 s27, 2, 4
	s_mov_b64 s[12:13], 0
	v_add_u32_e32 v21, v14, v8
	s_waitcnt vmcnt(0)
	v_subrev_co_u32_e32 v0, vcc, s1, v4
	v_subbrev_co_u32_e32 v1, vcc, 0, v5, vcc
	v_subrev_co_u32_e32 v2, vcc, s1, v6
	v_cmp_lt_i64_e64 s[0:1], v[4:5], v[6:7]
	v_subbrev_co_u32_e32 v3, vcc, 0, v7, vcc
	s_branch .LBB77_9
.LBB77_8:                               ;   in Loop: Header=BB77_9 Depth=1
	s_or_b64 exec, exec, s[2:3]
	s_add_u32 s12, s12, 8
	v_mov_b32_e32 v4, s18
	s_addc_u32 s13, s13, 0
	v_mov_b32_e32 v5, s19
	v_cmp_lt_i64_e32 vcc, s[12:13], v[4:5]
	s_cbranch_vccz .LBB77_30
.LBB77_9:                               ; =>This Loop Header: Depth=1
                                        ;     Child Loop BB77_12 Depth 2
                                        ;       Child Loop BB77_16 Depth 3
	v_mov_b32_e32 v5, s13
	v_or_b32_e32 v4, s12, v12
	v_mov_b32_e32 v22, 0
	s_and_saveexec_b64 s[16:17], s[0:1]
	s_cbranch_execz .LBB77_18
; %bb.10:                               ;   in Loop: Header=BB77_9 Depth=1
	v_lshlrev_b64 v[6:7], 1, v[4:5]
	v_mov_b32_e32 v8, s15
	v_add_co_u32_e64 v23, s[2:3], s14, v6
	v_cmp_gt_i64_e32 vcc, s[18:19], v[4:5]
	v_addc_co_u32_e64 v24, s[2:3], v8, v7, s[2:3]
	v_mov_b32_e32 v7, v1
	v_mov_b32_e32 v22, 0
	s_mov_b64 s[20:21], 0
	v_mov_b32_e32 v6, v0
	s_branch .LBB77_12
.LBB77_11:                              ;   in Loop: Header=BB77_12 Depth=2
	s_or_b64 exec, exec, s[28:29]
	v_add_co_u32_e64 v6, s[2:3], 8, v6
	v_addc_co_u32_e64 v7, s[2:3], 0, v7, s[2:3]
	v_cmp_ge_i64_e64 s[2:3], v[6:7], v[2:3]
	s_or_b64 s[20:21], s[2:3], s[20:21]
	s_andn2_b64 exec, exec, s[20:21]
	s_cbranch_execz .LBB77_17
.LBB77_12:                              ;   Parent Loop BB77_9 Depth=1
                                        ; =>  This Loop Header: Depth=2
                                        ;       Child Loop BB77_16 Depth 3
	v_add_co_u32_e64 v10, s[2:3], v6, v12
	v_addc_co_u32_e64 v11, s[2:3], 0, v7, s[2:3]
	v_cmp_lt_i64_e64 s[2:3], v[10:11], v[2:3]
	v_mov_b32_e32 v8, 0
	v_mov_b32_e32 v9, 0
	;; [unrolled: 1-line block ×4, first 2 shown]
	s_and_saveexec_b64 s[28:29], s[2:3]
	s_cbranch_execz .LBB77_14
; %bb.13:                               ;   in Loop: Header=BB77_12 Depth=2
	v_lshlrev_b64 v[8:9], 3, v[10:11]
	v_mov_b32_e32 v11, s11
	v_add_co_u32_e64 v10, s[2:3], s10, v8
	v_addc_co_u32_e64 v11, s[2:3], v11, v9, s[2:3]
	global_load_dwordx2 v[10:11], v[10:11], off
	v_add_co_u32_e64 v8, s[2:3], v18, v8
	v_addc_co_u32_e64 v9, s[2:3], v17, v9, s[2:3]
	v_add_co_u32_e64 v27, s[2:3], s27, v8
	v_addc_co_u32_e64 v28, s[2:3], 0, v9, s[2:3]
	global_load_ushort v25, v[8:9], off
	global_load_ushort v26, v[27:28], off
	s_waitcnt vmcnt(2)
	v_subrev_co_u32_e64 v8, s[2:3], s25, v10
	v_subbrev_co_u32_e64 v9, s[2:3], 0, v11, s[2:3]
	v_lshlrev_b64 v[8:9], 1, v[8:9]
.LBB77_14:                              ;   in Loop: Header=BB77_12 Depth=2
	s_or_b64 exec, exec, s[28:29]
	v_lshl_or_b32 v10, v12, 3, v13
	ds_write_b64 v10, v[8:9]
	s_waitcnt vmcnt(1)
	ds_write_b16 v21, v25
	s_waitcnt vmcnt(0)
	ds_write_b16 v21, v26 offset:2
	s_waitcnt lgkmcnt(0)
	; wave barrier
	s_and_saveexec_b64 s[28:29], vcc
	s_cbranch_execz .LBB77_11
; %bb.15:                               ;   in Loop: Header=BB77_12 Depth=2
	s_mov_b32 s30, 0
	v_mov_b32_e32 v8, v14
.LBB77_16:                              ;   Parent Loop BB77_9 Depth=1
                                        ;     Parent Loop BB77_12 Depth=2
                                        ; =>    This Inner Loop Header: Depth=3
	v_add_u32_e32 v9, s30, v13
	ds_read_b128 v[25:28], v9
	s_lshl_b64 s[34:35], s[6:7], 1
	v_mov_b32_e32 v11, s35
	s_add_i32 s30, s30, 16
	s_cmp_lg_u32 s30, 64
	s_waitcnt lgkmcnt(0)
	v_mul_lo_u32 v29, v26, s6
	v_mul_lo_u32 v30, v25, s7
	v_mad_u64_u32 v[9:10], s[2:3], v25, s6, 0
	v_mul_lo_u32 v28, v28, s6
	v_mul_lo_u32 v31, v27, s7
	v_mad_u64_u32 v[25:26], s[2:3], v27, s6, 0
	v_add3_u32 v10, v10, v30, v29
	v_lshlrev_b64 v[9:10], 1, v[9:10]
	v_add3_u32 v26, v26, v31, v28
	v_lshlrev_b64 v[25:26], 1, v[25:26]
	v_add_co_u32_e64 v9, s[2:3], v23, v9
	v_addc_co_u32_e64 v10, s[2:3], v24, v10, s[2:3]
	v_add_co_u32_e64 v25, s[2:3], v23, v25
	v_addc_co_u32_e64 v26, s[2:3], v24, v26, s[2:3]
	;; [unrolled: 2-line block ×4, first 2 shown]
	global_load_ushort v11, v[9:10], off
	global_load_ushort v31, v[27:28], off
	;; [unrolled: 1-line block ×4, first 2 shown]
	ds_read_b32 v9, v8
	ds_read_u16 v10, v8 offset:6
	ds_read_u16 v25, v8 offset:8
	v_add_u32_e32 v8, 12, v8
	s_waitcnt vmcnt(3) lgkmcnt(2)
	v_fma_mix_f32 v11, v9, v11, v22 op_sel_hi:[1,1,0]
	s_waitcnt vmcnt(2)
	v_fma_mix_f32 v9, v9, v31, v11 op_sel:[1,0,0] op_sel_hi:[1,1,0]
	s_waitcnt vmcnt(1) lgkmcnt(1)
	v_fma_mix_f32 v9, v10, v32, v9 op_sel_hi:[1,1,0]
	s_waitcnt vmcnt(0) lgkmcnt(0)
	v_fma_mix_f32 v22, v25, v33, v9 op_sel_hi:[1,1,0]
	s_cbranch_scc1 .LBB77_16
	s_branch .LBB77_11
.LBB77_17:                              ;   in Loop: Header=BB77_9 Depth=1
	s_or_b64 exec, exec, s[20:21]
.LBB77_18:                              ;   in Loop: Header=BB77_9 Depth=1
	s_or_b64 exec, exec, s[16:17]
	v_cmp_gt_i64_e32 vcc, s[18:19], v[4:5]
	s_and_saveexec_b64 s[2:3], vcc
	s_cbranch_execz .LBB77_8
; %bb.19:                               ;   in Loop: Header=BB77_9 Depth=1
	s_mov_b64 s[16:17], -1
	s_and_b64 vcc, exec, s[4:5]
	s_cbranch_vccz .LBB77_25
; %bb.20:                               ;   in Loop: Header=BB77_9 Depth=1
	s_and_b64 vcc, exec, s[8:9]
	s_cbranch_vccz .LBB77_22
; %bb.21:                               ;   in Loop: Header=BB77_9 Depth=1
	v_lshlrev_b64 v[6:7], 2, v[4:5]
	v_mul_f32_e32 v9, s24, v22
	v_add_co_u32_e32 v6, vcc, v19, v6
	v_addc_co_u32_e32 v7, vcc, v20, v7, vcc
	global_load_dword v8, v[6:7], off
	s_mov_b64 s[16:17], 0
	s_waitcnt vmcnt(0)
	v_fmac_f32_e32 v9, s26, v8
	global_store_dword v[6:7], v9, off
.LBB77_22:                              ;   in Loop: Header=BB77_9 Depth=1
	s_andn2_b64 vcc, exec, s[16:17]
	s_cbranch_vccnz .LBB77_24
; %bb.23:                               ;   in Loop: Header=BB77_9 Depth=1
	v_mul_lo_u32 v8, v5, s22
	v_mul_lo_u32 v9, v4, s23
	v_mad_u64_u32 v[6:7], s[16:17], v4, s22, 0
	v_add3_u32 v7, v7, v9, v8
	v_lshlrev_b64 v[6:7], 2, v[6:7]
	v_mul_f32_e32 v9, s24, v22
	v_add_co_u32_e32 v6, vcc, v15, v6
	v_addc_co_u32_e32 v7, vcc, v16, v7, vcc
	global_load_dword v8, v[6:7], off
	s_waitcnt vmcnt(0)
	v_fmac_f32_e32 v9, s26, v8
	global_store_dword v[6:7], v9, off
.LBB77_24:                              ;   in Loop: Header=BB77_9 Depth=1
	s_mov_b64 s[16:17], 0
.LBB77_25:                              ;   in Loop: Header=BB77_9 Depth=1
	s_andn2_b64 vcc, exec, s[16:17]
	s_cbranch_vccnz .LBB77_8
; %bb.26:                               ;   in Loop: Header=BB77_9 Depth=1
	v_mul_f32_e32 v6, s24, v22
	s_mov_b64 s[16:17], -1
	s_and_b64 vcc, exec, s[8:9]
	s_cbranch_vccz .LBB77_28
; %bb.27:                               ;   in Loop: Header=BB77_9 Depth=1
	v_lshlrev_b64 v[7:8], 2, v[4:5]
	s_mov_b64 s[16:17], 0
	v_add_co_u32_e32 v7, vcc, v19, v7
	v_addc_co_u32_e32 v8, vcc, v20, v8, vcc
	global_store_dword v[7:8], v6, off
.LBB77_28:                              ;   in Loop: Header=BB77_9 Depth=1
	s_andn2_b64 vcc, exec, s[16:17]
	s_cbranch_vccnz .LBB77_8
; %bb.29:                               ;   in Loop: Header=BB77_9 Depth=1
	v_mul_lo_u32 v7, v5, s22
	v_mul_lo_u32 v8, v4, s23
	v_mad_u64_u32 v[4:5], s[16:17], v4, s22, 0
	v_add3_u32 v5, v5, v8, v7
	v_lshlrev_b64 v[4:5], 2, v[4:5]
	v_add_co_u32_e32 v4, vcc, v15, v4
	v_addc_co_u32_e32 v5, vcc, v16, v5, vcc
	global_store_dword v[4:5], v6, off
	s_branch .LBB77_8
.LBB77_30:
	s_endpgm
	.section	.rodata,"a",@progbits
	.p2align	6, 0x0
	.amdhsa_kernel _ZN9rocsparseL29bsrmmnt_small_blockdim_kernelILj64ELj8ELj2EllDF16_DF16_ffEEv20rocsparse_direction_T3_S2_llNS_24const_host_device_scalarIT7_EEPKT2_PKS2_PKT4_PKT5_llS5_PT6_ll16rocsparse_order_21rocsparse_index_base_b
		.amdhsa_group_segment_fixed_size 896
		.amdhsa_private_segment_fixed_size 0
		.amdhsa_kernarg_size 400
		.amdhsa_user_sgpr_count 6
		.amdhsa_user_sgpr_private_segment_buffer 1
		.amdhsa_user_sgpr_dispatch_ptr 0
		.amdhsa_user_sgpr_queue_ptr 0
		.amdhsa_user_sgpr_kernarg_segment_ptr 1
		.amdhsa_user_sgpr_dispatch_id 0
		.amdhsa_user_sgpr_flat_scratch_init 0
		.amdhsa_user_sgpr_private_segment_size 0
		.amdhsa_uses_dynamic_stack 0
		.amdhsa_system_sgpr_private_segment_wavefront_offset 0
		.amdhsa_system_sgpr_workgroup_id_x 1
		.amdhsa_system_sgpr_workgroup_id_y 0
		.amdhsa_system_sgpr_workgroup_id_z 0
		.amdhsa_system_sgpr_workgroup_info 0
		.amdhsa_system_vgpr_workitem_id 0
		.amdhsa_next_free_vgpr 34
		.amdhsa_next_free_sgpr 36
		.amdhsa_reserve_vcc 1
		.amdhsa_reserve_flat_scratch 0
		.amdhsa_float_round_mode_32 0
		.amdhsa_float_round_mode_16_64 0
		.amdhsa_float_denorm_mode_32 3
		.amdhsa_float_denorm_mode_16_64 3
		.amdhsa_dx10_clamp 1
		.amdhsa_ieee_mode 1
		.amdhsa_fp16_overflow 0
		.amdhsa_exception_fp_ieee_invalid_op 0
		.amdhsa_exception_fp_denorm_src 0
		.amdhsa_exception_fp_ieee_div_zero 0
		.amdhsa_exception_fp_ieee_overflow 0
		.amdhsa_exception_fp_ieee_underflow 0
		.amdhsa_exception_fp_ieee_inexact 0
		.amdhsa_exception_int_div_zero 0
	.end_amdhsa_kernel
	.section	.text._ZN9rocsparseL29bsrmmnt_small_blockdim_kernelILj64ELj8ELj2EllDF16_DF16_ffEEv20rocsparse_direction_T3_S2_llNS_24const_host_device_scalarIT7_EEPKT2_PKS2_PKT4_PKT5_llS5_PT6_ll16rocsparse_order_21rocsparse_index_base_b,"axG",@progbits,_ZN9rocsparseL29bsrmmnt_small_blockdim_kernelILj64ELj8ELj2EllDF16_DF16_ffEEv20rocsparse_direction_T3_S2_llNS_24const_host_device_scalarIT7_EEPKT2_PKS2_PKT4_PKT5_llS5_PT6_ll16rocsparse_order_21rocsparse_index_base_b,comdat
.Lfunc_end77:
	.size	_ZN9rocsparseL29bsrmmnt_small_blockdim_kernelILj64ELj8ELj2EllDF16_DF16_ffEEv20rocsparse_direction_T3_S2_llNS_24const_host_device_scalarIT7_EEPKT2_PKS2_PKT4_PKT5_llS5_PT6_ll16rocsparse_order_21rocsparse_index_base_b, .Lfunc_end77-_ZN9rocsparseL29bsrmmnt_small_blockdim_kernelILj64ELj8ELj2EllDF16_DF16_ffEEv20rocsparse_direction_T3_S2_llNS_24const_host_device_scalarIT7_EEPKT2_PKS2_PKT4_PKT5_llS5_PT6_ll16rocsparse_order_21rocsparse_index_base_b
                                        ; -- End function
	.set _ZN9rocsparseL29bsrmmnt_small_blockdim_kernelILj64ELj8ELj2EllDF16_DF16_ffEEv20rocsparse_direction_T3_S2_llNS_24const_host_device_scalarIT7_EEPKT2_PKS2_PKT4_PKT5_llS5_PT6_ll16rocsparse_order_21rocsparse_index_base_b.num_vgpr, 34
	.set _ZN9rocsparseL29bsrmmnt_small_blockdim_kernelILj64ELj8ELj2EllDF16_DF16_ffEEv20rocsparse_direction_T3_S2_llNS_24const_host_device_scalarIT7_EEPKT2_PKS2_PKT4_PKT5_llS5_PT6_ll16rocsparse_order_21rocsparse_index_base_b.num_agpr, 0
	.set _ZN9rocsparseL29bsrmmnt_small_blockdim_kernelILj64ELj8ELj2EllDF16_DF16_ffEEv20rocsparse_direction_T3_S2_llNS_24const_host_device_scalarIT7_EEPKT2_PKS2_PKT4_PKT5_llS5_PT6_ll16rocsparse_order_21rocsparse_index_base_b.numbered_sgpr, 36
	.set _ZN9rocsparseL29bsrmmnt_small_blockdim_kernelILj64ELj8ELj2EllDF16_DF16_ffEEv20rocsparse_direction_T3_S2_llNS_24const_host_device_scalarIT7_EEPKT2_PKS2_PKT4_PKT5_llS5_PT6_ll16rocsparse_order_21rocsparse_index_base_b.num_named_barrier, 0
	.set _ZN9rocsparseL29bsrmmnt_small_blockdim_kernelILj64ELj8ELj2EllDF16_DF16_ffEEv20rocsparse_direction_T3_S2_llNS_24const_host_device_scalarIT7_EEPKT2_PKS2_PKT4_PKT5_llS5_PT6_ll16rocsparse_order_21rocsparse_index_base_b.private_seg_size, 0
	.set _ZN9rocsparseL29bsrmmnt_small_blockdim_kernelILj64ELj8ELj2EllDF16_DF16_ffEEv20rocsparse_direction_T3_S2_llNS_24const_host_device_scalarIT7_EEPKT2_PKS2_PKT4_PKT5_llS5_PT6_ll16rocsparse_order_21rocsparse_index_base_b.uses_vcc, 1
	.set _ZN9rocsparseL29bsrmmnt_small_blockdim_kernelILj64ELj8ELj2EllDF16_DF16_ffEEv20rocsparse_direction_T3_S2_llNS_24const_host_device_scalarIT7_EEPKT2_PKS2_PKT4_PKT5_llS5_PT6_ll16rocsparse_order_21rocsparse_index_base_b.uses_flat_scratch, 0
	.set _ZN9rocsparseL29bsrmmnt_small_blockdim_kernelILj64ELj8ELj2EllDF16_DF16_ffEEv20rocsparse_direction_T3_S2_llNS_24const_host_device_scalarIT7_EEPKT2_PKS2_PKT4_PKT5_llS5_PT6_ll16rocsparse_order_21rocsparse_index_base_b.has_dyn_sized_stack, 0
	.set _ZN9rocsparseL29bsrmmnt_small_blockdim_kernelILj64ELj8ELj2EllDF16_DF16_ffEEv20rocsparse_direction_T3_S2_llNS_24const_host_device_scalarIT7_EEPKT2_PKS2_PKT4_PKT5_llS5_PT6_ll16rocsparse_order_21rocsparse_index_base_b.has_recursion, 0
	.set _ZN9rocsparseL29bsrmmnt_small_blockdim_kernelILj64ELj8ELj2EllDF16_DF16_ffEEv20rocsparse_direction_T3_S2_llNS_24const_host_device_scalarIT7_EEPKT2_PKS2_PKT4_PKT5_llS5_PT6_ll16rocsparse_order_21rocsparse_index_base_b.has_indirect_call, 0
	.section	.AMDGPU.csdata,"",@progbits
; Kernel info:
; codeLenInByte = 1380
; TotalNumSgprs: 40
; NumVgprs: 34
; ScratchSize: 0
; MemoryBound: 0
; FloatMode: 240
; IeeeMode: 1
; LDSByteSize: 896 bytes/workgroup (compile time only)
; SGPRBlocks: 4
; VGPRBlocks: 8
; NumSGPRsForWavesPerEU: 40
; NumVGPRsForWavesPerEU: 34
; Occupancy: 7
; WaveLimiterHint : 1
; COMPUTE_PGM_RSRC2:SCRATCH_EN: 0
; COMPUTE_PGM_RSRC2:USER_SGPR: 6
; COMPUTE_PGM_RSRC2:TRAP_HANDLER: 0
; COMPUTE_PGM_RSRC2:TGID_X_EN: 1
; COMPUTE_PGM_RSRC2:TGID_Y_EN: 0
; COMPUTE_PGM_RSRC2:TGID_Z_EN: 0
; COMPUTE_PGM_RSRC2:TIDIG_COMP_CNT: 0
	.section	.text._ZN9rocsparseL29bsrmmnt_small_blockdim_kernelILj64ELj16ELj2EllDF16_DF16_ffEEv20rocsparse_direction_T3_S2_llNS_24const_host_device_scalarIT7_EEPKT2_PKS2_PKT4_PKT5_llS5_PT6_ll16rocsparse_order_21rocsparse_index_base_b,"axG",@progbits,_ZN9rocsparseL29bsrmmnt_small_blockdim_kernelILj64ELj16ELj2EllDF16_DF16_ffEEv20rocsparse_direction_T3_S2_llNS_24const_host_device_scalarIT7_EEPKT2_PKS2_PKT4_PKT5_llS5_PT6_ll16rocsparse_order_21rocsparse_index_base_b,comdat
	.globl	_ZN9rocsparseL29bsrmmnt_small_blockdim_kernelILj64ELj16ELj2EllDF16_DF16_ffEEv20rocsparse_direction_T3_S2_llNS_24const_host_device_scalarIT7_EEPKT2_PKS2_PKT4_PKT5_llS5_PT6_ll16rocsparse_order_21rocsparse_index_base_b ; -- Begin function _ZN9rocsparseL29bsrmmnt_small_blockdim_kernelILj64ELj16ELj2EllDF16_DF16_ffEEv20rocsparse_direction_T3_S2_llNS_24const_host_device_scalarIT7_EEPKT2_PKS2_PKT4_PKT5_llS5_PT6_ll16rocsparse_order_21rocsparse_index_base_b
	.p2align	8
	.type	_ZN9rocsparseL29bsrmmnt_small_blockdim_kernelILj64ELj16ELj2EllDF16_DF16_ffEEv20rocsparse_direction_T3_S2_llNS_24const_host_device_scalarIT7_EEPKT2_PKS2_PKT4_PKT5_llS5_PT6_ll16rocsparse_order_21rocsparse_index_base_b,@function
_ZN9rocsparseL29bsrmmnt_small_blockdim_kernelILj64ELj16ELj2EllDF16_DF16_ffEEv20rocsparse_direction_T3_S2_llNS_24const_host_device_scalarIT7_EEPKT2_PKS2_PKT4_PKT5_llS5_PT6_ll16rocsparse_order_21rocsparse_index_base_b: ; @_ZN9rocsparseL29bsrmmnt_small_blockdim_kernelILj64ELj16ELj2EllDF16_DF16_ffEEv20rocsparse_direction_T3_S2_llNS_24const_host_device_scalarIT7_EEPKT2_PKS2_PKT4_PKT5_llS5_PT6_ll16rocsparse_order_21rocsparse_index_base_b
; %bb.0:
	s_load_dwordx4 s[0:3], s[4:5], 0x80
	s_load_dwordx2 s[24:25], s[4:5], 0x28
	s_load_dwordx2 s[26:27], s[4:5], 0x60
	s_waitcnt lgkmcnt(0)
	s_bitcmp1_b32 s2, 0
	s_cselect_b64 s[8:9], -1, 0
	s_xor_b64 s[2:3], s[8:9], -1
	s_and_b64 vcc, exec, s[8:9]
	s_cbranch_vccnz .LBB78_2
; %bb.1:
	s_load_dword s24, s[24:25], 0x0
.LBB78_2:
	s_andn2_b64 vcc, exec, s[2:3]
	s_cbranch_vccnz .LBB78_4
; %bb.3:
	s_load_dword s26, s[26:27], 0x0
.LBB78_4:
	s_waitcnt lgkmcnt(0)
	v_cmp_eq_f32_e64 s[2:3], s24, 0
	v_cmp_eq_f32_e64 s[8:9], s26, 1.0
	s_and_b64 s[2:3], s[2:3], s[8:9]
	s_and_b64 vcc, exec, s[2:3]
	s_cbranch_vccnz .LBB78_30
; %bb.5:
	s_load_dword s2, s[4:5], 0x9c
	s_load_dwordx4 s[16:19], s[4:5], 0x8
	v_mov_b32_e32 v2, 0
	s_waitcnt lgkmcnt(0)
	s_and_b32 s2, s2, 0xffff
	s_mul_i32 s6, s6, s2
	v_add_u32_e32 v3, s6, v0
	v_lshrrev_b32_e32 v1, 5, v3
	v_cmp_gt_i64_e32 vcc, s[16:17], v[1:2]
	s_and_saveexec_b64 s[2:3], vcc
	s_cbranch_execz .LBB78_30
; %bb.6:
	v_cmp_lt_i64_e64 s[2:3], s[18:19], 1
	s_and_b64 vcc, exec, s[2:3]
	s_cbranch_vccnz .LBB78_30
; %bb.7:
	s_load_dwordx8 s[8:15], s[4:5], 0x30
	v_lshlrev_b32_e32 v1, 3, v1
	v_and_b32_e32 v12, 15, v0
	v_lshrrev_b32_e32 v0, 4, v0
	v_lshrrev_b32_e32 v2, 4, v3
	s_waitcnt lgkmcnt(0)
	global_load_dwordx4 v[4:7], v1, s[8:9]
	s_load_dword s2, s[4:5], 0x0
	s_load_dwordx4 s[20:23], s[4:5], 0x68
	s_load_dwordx2 s[6:7], s[4:5], 0x50
	v_lshrrev_b32_e32 v1, 3, v3
	s_cmp_lg_u32 s0, 1
	v_lshlrev_b32_e32 v13, 7, v0
	v_mul_u32_u24_e32 v0, 0x60, v0
	v_and_b32_e32 v3, 2, v1
	s_cselect_b64 s[8:9], -1, 0
	v_or_b32_e32 v14, 0x200, v0
	s_waitcnt lgkmcnt(0)
	s_cmp_eq_u32 s2, 0
	v_mad_u64_u32 v[0:1], s[2:3], v2, s22, 0
	v_mov_b32_e32 v10, s13
	v_add_co_u32_e32 v18, vcc, s12, v3
	v_lshlrev_b32_e32 v9, 2, v2
	v_addc_co_u32_e32 v10, vcc, 0, v10, vcc
	v_mad_u64_u32 v[1:2], s[2:3], v2, s23, v[1:2]
	v_mov_b32_e32 v16, s21
	v_add_co_u32_e32 v15, vcc, s20, v9
	v_addc_co_u32_e32 v16, vcc, 0, v16, vcc
	v_add_co_u32_e32 v3, vcc, v18, v3
	v_addc_co_u32_e32 v9, vcc, 0, v10, vcc
	v_lshlrev_b64 v[0:1], 2, v[0:1]
	s_cselect_b64 vcc, -1, 0
	v_mov_b32_e32 v11, s21
	v_cndmask_b32_e32 v17, v10, v9, vcc
	v_cndmask_b32_e32 v18, v18, v3, vcc
	s_and_b64 s[2:3], vcc, exec
	v_add_co_u32_e32 v19, vcc, s20, v0
	v_addc_co_u32_e32 v20, vcc, v11, v1, vcc
	s_mov_b32 s25, s1
	v_mul_u32_u24_e32 v8, 6, v12
	v_cmp_neq_f32_e64 s[4:5], s26, 0
	s_cselect_b32 s27, 2, 4
	s_mov_b64 s[12:13], 0
	v_add_u32_e32 v21, v14, v8
	s_waitcnt vmcnt(0)
	v_subrev_co_u32_e32 v0, vcc, s1, v4
	v_subbrev_co_u32_e32 v1, vcc, 0, v5, vcc
	v_subrev_co_u32_e32 v2, vcc, s1, v6
	v_cmp_lt_i64_e64 s[0:1], v[4:5], v[6:7]
	v_subbrev_co_u32_e32 v3, vcc, 0, v7, vcc
	s_branch .LBB78_9
.LBB78_8:                               ;   in Loop: Header=BB78_9 Depth=1
	s_or_b64 exec, exec, s[2:3]
	s_add_u32 s12, s12, 16
	v_mov_b32_e32 v4, s18
	s_addc_u32 s13, s13, 0
	v_mov_b32_e32 v5, s19
	v_cmp_lt_i64_e32 vcc, s[12:13], v[4:5]
	s_cbranch_vccz .LBB78_30
.LBB78_9:                               ; =>This Loop Header: Depth=1
                                        ;     Child Loop BB78_12 Depth 2
                                        ;       Child Loop BB78_16 Depth 3
	v_mov_b32_e32 v5, s13
	v_or_b32_e32 v4, s12, v12
	v_mov_b32_e32 v22, 0
	s_and_saveexec_b64 s[16:17], s[0:1]
	s_cbranch_execz .LBB78_18
; %bb.10:                               ;   in Loop: Header=BB78_9 Depth=1
	v_lshlrev_b64 v[6:7], 1, v[4:5]
	v_mov_b32_e32 v8, s15
	v_add_co_u32_e64 v23, s[2:3], s14, v6
	v_cmp_gt_i64_e32 vcc, s[18:19], v[4:5]
	v_addc_co_u32_e64 v24, s[2:3], v8, v7, s[2:3]
	v_mov_b32_e32 v7, v1
	v_mov_b32_e32 v22, 0
	s_mov_b64 s[20:21], 0
	v_mov_b32_e32 v6, v0
	s_branch .LBB78_12
.LBB78_11:                              ;   in Loop: Header=BB78_12 Depth=2
	s_or_b64 exec, exec, s[28:29]
	v_add_co_u32_e64 v6, s[2:3], 16, v6
	v_addc_co_u32_e64 v7, s[2:3], 0, v7, s[2:3]
	v_cmp_ge_i64_e64 s[2:3], v[6:7], v[2:3]
	s_or_b64 s[20:21], s[2:3], s[20:21]
	s_andn2_b64 exec, exec, s[20:21]
	s_cbranch_execz .LBB78_17
.LBB78_12:                              ;   Parent Loop BB78_9 Depth=1
                                        ; =>  This Loop Header: Depth=2
                                        ;       Child Loop BB78_16 Depth 3
	v_add_co_u32_e64 v10, s[2:3], v6, v12
	v_addc_co_u32_e64 v11, s[2:3], 0, v7, s[2:3]
	v_cmp_lt_i64_e64 s[2:3], v[10:11], v[2:3]
	v_mov_b32_e32 v8, 0
	v_mov_b32_e32 v9, 0
	v_mov_b32_e32 v25, 0
	v_mov_b32_e32 v26, 0
	s_and_saveexec_b64 s[28:29], s[2:3]
	s_cbranch_execz .LBB78_14
; %bb.13:                               ;   in Loop: Header=BB78_12 Depth=2
	v_lshlrev_b64 v[8:9], 3, v[10:11]
	v_mov_b32_e32 v11, s11
	v_add_co_u32_e64 v10, s[2:3], s10, v8
	v_addc_co_u32_e64 v11, s[2:3], v11, v9, s[2:3]
	global_load_dwordx2 v[10:11], v[10:11], off
	v_add_co_u32_e64 v8, s[2:3], v18, v8
	v_addc_co_u32_e64 v9, s[2:3], v17, v9, s[2:3]
	v_add_co_u32_e64 v27, s[2:3], s27, v8
	v_addc_co_u32_e64 v28, s[2:3], 0, v9, s[2:3]
	global_load_ushort v25, v[8:9], off
	global_load_ushort v26, v[27:28], off
	s_waitcnt vmcnt(2)
	v_subrev_co_u32_e64 v8, s[2:3], s25, v10
	v_subbrev_co_u32_e64 v9, s[2:3], 0, v11, s[2:3]
	v_lshlrev_b64 v[8:9], 1, v[8:9]
.LBB78_14:                              ;   in Loop: Header=BB78_12 Depth=2
	s_or_b64 exec, exec, s[28:29]
	v_lshl_or_b32 v10, v12, 3, v13
	ds_write_b64 v10, v[8:9]
	s_waitcnt vmcnt(1)
	ds_write_b16 v21, v25
	s_waitcnt vmcnt(0)
	ds_write_b16 v21, v26 offset:2
	s_waitcnt lgkmcnt(0)
	; wave barrier
	s_and_saveexec_b64 s[28:29], vcc
	s_cbranch_execz .LBB78_11
; %bb.15:                               ;   in Loop: Header=BB78_12 Depth=2
	s_mov_b32 s30, 0
	v_mov_b32_e32 v8, v14
.LBB78_16:                              ;   Parent Loop BB78_9 Depth=1
                                        ;     Parent Loop BB78_12 Depth=2
                                        ; =>    This Inner Loop Header: Depth=3
	v_add_u32_e32 v9, s30, v13
	ds_read_b128 v[25:28], v9
	s_lshl_b64 s[34:35], s[6:7], 1
	v_mov_b32_e32 v11, s35
	s_add_i32 s30, s30, 16
	s_cmpk_lg_i32 s30, 0x80
	s_waitcnt lgkmcnt(0)
	v_mul_lo_u32 v29, v26, s6
	v_mul_lo_u32 v30, v25, s7
	v_mad_u64_u32 v[9:10], s[2:3], v25, s6, 0
	v_mul_lo_u32 v28, v28, s6
	v_mul_lo_u32 v31, v27, s7
	v_mad_u64_u32 v[25:26], s[2:3], v27, s6, 0
	v_add3_u32 v10, v10, v30, v29
	v_lshlrev_b64 v[9:10], 1, v[9:10]
	v_add3_u32 v26, v26, v31, v28
	v_lshlrev_b64 v[25:26], 1, v[25:26]
	v_add_co_u32_e64 v9, s[2:3], v23, v9
	v_addc_co_u32_e64 v10, s[2:3], v24, v10, s[2:3]
	v_add_co_u32_e64 v25, s[2:3], v23, v25
	v_addc_co_u32_e64 v26, s[2:3], v24, v26, s[2:3]
	;; [unrolled: 2-line block ×4, first 2 shown]
	global_load_ushort v11, v[9:10], off
	global_load_ushort v31, v[27:28], off
	;; [unrolled: 1-line block ×4, first 2 shown]
	ds_read_b32 v9, v8
	ds_read_u16 v10, v8 offset:6
	ds_read_u16 v25, v8 offset:8
	v_add_u32_e32 v8, 12, v8
	s_waitcnt vmcnt(3) lgkmcnt(2)
	v_fma_mix_f32 v11, v9, v11, v22 op_sel_hi:[1,1,0]
	s_waitcnt vmcnt(2)
	v_fma_mix_f32 v9, v9, v31, v11 op_sel:[1,0,0] op_sel_hi:[1,1,0]
	s_waitcnt vmcnt(1) lgkmcnt(1)
	v_fma_mix_f32 v9, v10, v32, v9 op_sel_hi:[1,1,0]
	s_waitcnt vmcnt(0) lgkmcnt(0)
	v_fma_mix_f32 v22, v25, v33, v9 op_sel_hi:[1,1,0]
	s_cbranch_scc1 .LBB78_16
	s_branch .LBB78_11
.LBB78_17:                              ;   in Loop: Header=BB78_9 Depth=1
	s_or_b64 exec, exec, s[20:21]
.LBB78_18:                              ;   in Loop: Header=BB78_9 Depth=1
	s_or_b64 exec, exec, s[16:17]
	v_cmp_gt_i64_e32 vcc, s[18:19], v[4:5]
	s_and_saveexec_b64 s[2:3], vcc
	s_cbranch_execz .LBB78_8
; %bb.19:                               ;   in Loop: Header=BB78_9 Depth=1
	s_mov_b64 s[16:17], -1
	s_and_b64 vcc, exec, s[4:5]
	s_cbranch_vccz .LBB78_25
; %bb.20:                               ;   in Loop: Header=BB78_9 Depth=1
	s_and_b64 vcc, exec, s[8:9]
	s_cbranch_vccz .LBB78_22
; %bb.21:                               ;   in Loop: Header=BB78_9 Depth=1
	v_lshlrev_b64 v[6:7], 2, v[4:5]
	v_mul_f32_e32 v9, s24, v22
	v_add_co_u32_e32 v6, vcc, v19, v6
	v_addc_co_u32_e32 v7, vcc, v20, v7, vcc
	global_load_dword v8, v[6:7], off
	s_mov_b64 s[16:17], 0
	s_waitcnt vmcnt(0)
	v_fmac_f32_e32 v9, s26, v8
	global_store_dword v[6:7], v9, off
.LBB78_22:                              ;   in Loop: Header=BB78_9 Depth=1
	s_andn2_b64 vcc, exec, s[16:17]
	s_cbranch_vccnz .LBB78_24
; %bb.23:                               ;   in Loop: Header=BB78_9 Depth=1
	v_mul_lo_u32 v8, v5, s22
	v_mul_lo_u32 v9, v4, s23
	v_mad_u64_u32 v[6:7], s[16:17], v4, s22, 0
	v_add3_u32 v7, v7, v9, v8
	v_lshlrev_b64 v[6:7], 2, v[6:7]
	v_mul_f32_e32 v9, s24, v22
	v_add_co_u32_e32 v6, vcc, v15, v6
	v_addc_co_u32_e32 v7, vcc, v16, v7, vcc
	global_load_dword v8, v[6:7], off
	s_waitcnt vmcnt(0)
	v_fmac_f32_e32 v9, s26, v8
	global_store_dword v[6:7], v9, off
.LBB78_24:                              ;   in Loop: Header=BB78_9 Depth=1
	s_mov_b64 s[16:17], 0
.LBB78_25:                              ;   in Loop: Header=BB78_9 Depth=1
	s_andn2_b64 vcc, exec, s[16:17]
	s_cbranch_vccnz .LBB78_8
; %bb.26:                               ;   in Loop: Header=BB78_9 Depth=1
	v_mul_f32_e32 v6, s24, v22
	s_mov_b64 s[16:17], -1
	s_and_b64 vcc, exec, s[8:9]
	s_cbranch_vccz .LBB78_28
; %bb.27:                               ;   in Loop: Header=BB78_9 Depth=1
	v_lshlrev_b64 v[7:8], 2, v[4:5]
	s_mov_b64 s[16:17], 0
	v_add_co_u32_e32 v7, vcc, v19, v7
	v_addc_co_u32_e32 v8, vcc, v20, v8, vcc
	global_store_dword v[7:8], v6, off
.LBB78_28:                              ;   in Loop: Header=BB78_9 Depth=1
	s_andn2_b64 vcc, exec, s[16:17]
	s_cbranch_vccnz .LBB78_8
; %bb.29:                               ;   in Loop: Header=BB78_9 Depth=1
	v_mul_lo_u32 v7, v5, s22
	v_mul_lo_u32 v8, v4, s23
	v_mad_u64_u32 v[4:5], s[16:17], v4, s22, 0
	v_add3_u32 v5, v5, v8, v7
	v_lshlrev_b64 v[4:5], 2, v[4:5]
	v_add_co_u32_e32 v4, vcc, v15, v4
	v_addc_co_u32_e32 v5, vcc, v16, v5, vcc
	global_store_dword v[4:5], v6, off
	s_branch .LBB78_8
.LBB78_30:
	s_endpgm
	.section	.rodata,"a",@progbits
	.p2align	6, 0x0
	.amdhsa_kernel _ZN9rocsparseL29bsrmmnt_small_blockdim_kernelILj64ELj16ELj2EllDF16_DF16_ffEEv20rocsparse_direction_T3_S2_llNS_24const_host_device_scalarIT7_EEPKT2_PKS2_PKT4_PKT5_llS5_PT6_ll16rocsparse_order_21rocsparse_index_base_b
		.amdhsa_group_segment_fixed_size 896
		.amdhsa_private_segment_fixed_size 0
		.amdhsa_kernarg_size 400
		.amdhsa_user_sgpr_count 6
		.amdhsa_user_sgpr_private_segment_buffer 1
		.amdhsa_user_sgpr_dispatch_ptr 0
		.amdhsa_user_sgpr_queue_ptr 0
		.amdhsa_user_sgpr_kernarg_segment_ptr 1
		.amdhsa_user_sgpr_dispatch_id 0
		.amdhsa_user_sgpr_flat_scratch_init 0
		.amdhsa_user_sgpr_private_segment_size 0
		.amdhsa_uses_dynamic_stack 0
		.amdhsa_system_sgpr_private_segment_wavefront_offset 0
		.amdhsa_system_sgpr_workgroup_id_x 1
		.amdhsa_system_sgpr_workgroup_id_y 0
		.amdhsa_system_sgpr_workgroup_id_z 0
		.amdhsa_system_sgpr_workgroup_info 0
		.amdhsa_system_vgpr_workitem_id 0
		.amdhsa_next_free_vgpr 34
		.amdhsa_next_free_sgpr 36
		.amdhsa_reserve_vcc 1
		.amdhsa_reserve_flat_scratch 0
		.amdhsa_float_round_mode_32 0
		.amdhsa_float_round_mode_16_64 0
		.amdhsa_float_denorm_mode_32 3
		.amdhsa_float_denorm_mode_16_64 3
		.amdhsa_dx10_clamp 1
		.amdhsa_ieee_mode 1
		.amdhsa_fp16_overflow 0
		.amdhsa_exception_fp_ieee_invalid_op 0
		.amdhsa_exception_fp_denorm_src 0
		.amdhsa_exception_fp_ieee_div_zero 0
		.amdhsa_exception_fp_ieee_overflow 0
		.amdhsa_exception_fp_ieee_underflow 0
		.amdhsa_exception_fp_ieee_inexact 0
		.amdhsa_exception_int_div_zero 0
	.end_amdhsa_kernel
	.section	.text._ZN9rocsparseL29bsrmmnt_small_blockdim_kernelILj64ELj16ELj2EllDF16_DF16_ffEEv20rocsparse_direction_T3_S2_llNS_24const_host_device_scalarIT7_EEPKT2_PKS2_PKT4_PKT5_llS5_PT6_ll16rocsparse_order_21rocsparse_index_base_b,"axG",@progbits,_ZN9rocsparseL29bsrmmnt_small_blockdim_kernelILj64ELj16ELj2EllDF16_DF16_ffEEv20rocsparse_direction_T3_S2_llNS_24const_host_device_scalarIT7_EEPKT2_PKS2_PKT4_PKT5_llS5_PT6_ll16rocsparse_order_21rocsparse_index_base_b,comdat
.Lfunc_end78:
	.size	_ZN9rocsparseL29bsrmmnt_small_blockdim_kernelILj64ELj16ELj2EllDF16_DF16_ffEEv20rocsparse_direction_T3_S2_llNS_24const_host_device_scalarIT7_EEPKT2_PKS2_PKT4_PKT5_llS5_PT6_ll16rocsparse_order_21rocsparse_index_base_b, .Lfunc_end78-_ZN9rocsparseL29bsrmmnt_small_blockdim_kernelILj64ELj16ELj2EllDF16_DF16_ffEEv20rocsparse_direction_T3_S2_llNS_24const_host_device_scalarIT7_EEPKT2_PKS2_PKT4_PKT5_llS5_PT6_ll16rocsparse_order_21rocsparse_index_base_b
                                        ; -- End function
	.set _ZN9rocsparseL29bsrmmnt_small_blockdim_kernelILj64ELj16ELj2EllDF16_DF16_ffEEv20rocsparse_direction_T3_S2_llNS_24const_host_device_scalarIT7_EEPKT2_PKS2_PKT4_PKT5_llS5_PT6_ll16rocsparse_order_21rocsparse_index_base_b.num_vgpr, 34
	.set _ZN9rocsparseL29bsrmmnt_small_blockdim_kernelILj64ELj16ELj2EllDF16_DF16_ffEEv20rocsparse_direction_T3_S2_llNS_24const_host_device_scalarIT7_EEPKT2_PKS2_PKT4_PKT5_llS5_PT6_ll16rocsparse_order_21rocsparse_index_base_b.num_agpr, 0
	.set _ZN9rocsparseL29bsrmmnt_small_blockdim_kernelILj64ELj16ELj2EllDF16_DF16_ffEEv20rocsparse_direction_T3_S2_llNS_24const_host_device_scalarIT7_EEPKT2_PKS2_PKT4_PKT5_llS5_PT6_ll16rocsparse_order_21rocsparse_index_base_b.numbered_sgpr, 36
	.set _ZN9rocsparseL29bsrmmnt_small_blockdim_kernelILj64ELj16ELj2EllDF16_DF16_ffEEv20rocsparse_direction_T3_S2_llNS_24const_host_device_scalarIT7_EEPKT2_PKS2_PKT4_PKT5_llS5_PT6_ll16rocsparse_order_21rocsparse_index_base_b.num_named_barrier, 0
	.set _ZN9rocsparseL29bsrmmnt_small_blockdim_kernelILj64ELj16ELj2EllDF16_DF16_ffEEv20rocsparse_direction_T3_S2_llNS_24const_host_device_scalarIT7_EEPKT2_PKS2_PKT4_PKT5_llS5_PT6_ll16rocsparse_order_21rocsparse_index_base_b.private_seg_size, 0
	.set _ZN9rocsparseL29bsrmmnt_small_blockdim_kernelILj64ELj16ELj2EllDF16_DF16_ffEEv20rocsparse_direction_T3_S2_llNS_24const_host_device_scalarIT7_EEPKT2_PKS2_PKT4_PKT5_llS5_PT6_ll16rocsparse_order_21rocsparse_index_base_b.uses_vcc, 1
	.set _ZN9rocsparseL29bsrmmnt_small_blockdim_kernelILj64ELj16ELj2EllDF16_DF16_ffEEv20rocsparse_direction_T3_S2_llNS_24const_host_device_scalarIT7_EEPKT2_PKS2_PKT4_PKT5_llS5_PT6_ll16rocsparse_order_21rocsparse_index_base_b.uses_flat_scratch, 0
	.set _ZN9rocsparseL29bsrmmnt_small_blockdim_kernelILj64ELj16ELj2EllDF16_DF16_ffEEv20rocsparse_direction_T3_S2_llNS_24const_host_device_scalarIT7_EEPKT2_PKS2_PKT4_PKT5_llS5_PT6_ll16rocsparse_order_21rocsparse_index_base_b.has_dyn_sized_stack, 0
	.set _ZN9rocsparseL29bsrmmnt_small_blockdim_kernelILj64ELj16ELj2EllDF16_DF16_ffEEv20rocsparse_direction_T3_S2_llNS_24const_host_device_scalarIT7_EEPKT2_PKS2_PKT4_PKT5_llS5_PT6_ll16rocsparse_order_21rocsparse_index_base_b.has_recursion, 0
	.set _ZN9rocsparseL29bsrmmnt_small_blockdim_kernelILj64ELj16ELj2EllDF16_DF16_ffEEv20rocsparse_direction_T3_S2_llNS_24const_host_device_scalarIT7_EEPKT2_PKS2_PKT4_PKT5_llS5_PT6_ll16rocsparse_order_21rocsparse_index_base_b.has_indirect_call, 0
	.section	.AMDGPU.csdata,"",@progbits
; Kernel info:
; codeLenInByte = 1384
; TotalNumSgprs: 40
; NumVgprs: 34
; ScratchSize: 0
; MemoryBound: 0
; FloatMode: 240
; IeeeMode: 1
; LDSByteSize: 896 bytes/workgroup (compile time only)
; SGPRBlocks: 4
; VGPRBlocks: 8
; NumSGPRsForWavesPerEU: 40
; NumVGPRsForWavesPerEU: 34
; Occupancy: 7
; WaveLimiterHint : 1
; COMPUTE_PGM_RSRC2:SCRATCH_EN: 0
; COMPUTE_PGM_RSRC2:USER_SGPR: 6
; COMPUTE_PGM_RSRC2:TRAP_HANDLER: 0
; COMPUTE_PGM_RSRC2:TGID_X_EN: 1
; COMPUTE_PGM_RSRC2:TGID_Y_EN: 0
; COMPUTE_PGM_RSRC2:TGID_Z_EN: 0
; COMPUTE_PGM_RSRC2:TIDIG_COMP_CNT: 0
	.section	.text._ZN9rocsparseL29bsrmmnt_small_blockdim_kernelILj64ELj32ELj2EllDF16_DF16_ffEEv20rocsparse_direction_T3_S2_llNS_24const_host_device_scalarIT7_EEPKT2_PKS2_PKT4_PKT5_llS5_PT6_ll16rocsparse_order_21rocsparse_index_base_b,"axG",@progbits,_ZN9rocsparseL29bsrmmnt_small_blockdim_kernelILj64ELj32ELj2EllDF16_DF16_ffEEv20rocsparse_direction_T3_S2_llNS_24const_host_device_scalarIT7_EEPKT2_PKS2_PKT4_PKT5_llS5_PT6_ll16rocsparse_order_21rocsparse_index_base_b,comdat
	.globl	_ZN9rocsparseL29bsrmmnt_small_blockdim_kernelILj64ELj32ELj2EllDF16_DF16_ffEEv20rocsparse_direction_T3_S2_llNS_24const_host_device_scalarIT7_EEPKT2_PKS2_PKT4_PKT5_llS5_PT6_ll16rocsparse_order_21rocsparse_index_base_b ; -- Begin function _ZN9rocsparseL29bsrmmnt_small_blockdim_kernelILj64ELj32ELj2EllDF16_DF16_ffEEv20rocsparse_direction_T3_S2_llNS_24const_host_device_scalarIT7_EEPKT2_PKS2_PKT4_PKT5_llS5_PT6_ll16rocsparse_order_21rocsparse_index_base_b
	.p2align	8
	.type	_ZN9rocsparseL29bsrmmnt_small_blockdim_kernelILj64ELj32ELj2EllDF16_DF16_ffEEv20rocsparse_direction_T3_S2_llNS_24const_host_device_scalarIT7_EEPKT2_PKS2_PKT4_PKT5_llS5_PT6_ll16rocsparse_order_21rocsparse_index_base_b,@function
_ZN9rocsparseL29bsrmmnt_small_blockdim_kernelILj64ELj32ELj2EllDF16_DF16_ffEEv20rocsparse_direction_T3_S2_llNS_24const_host_device_scalarIT7_EEPKT2_PKS2_PKT4_PKT5_llS5_PT6_ll16rocsparse_order_21rocsparse_index_base_b: ; @_ZN9rocsparseL29bsrmmnt_small_blockdim_kernelILj64ELj32ELj2EllDF16_DF16_ffEEv20rocsparse_direction_T3_S2_llNS_24const_host_device_scalarIT7_EEPKT2_PKS2_PKT4_PKT5_llS5_PT6_ll16rocsparse_order_21rocsparse_index_base_b
; %bb.0:
	s_load_dwordx4 s[0:3], s[4:5], 0x80
	s_load_dwordx2 s[24:25], s[4:5], 0x28
	s_load_dwordx2 s[26:27], s[4:5], 0x60
	s_waitcnt lgkmcnt(0)
	s_bitcmp1_b32 s2, 0
	s_cselect_b64 s[8:9], -1, 0
	s_xor_b64 s[2:3], s[8:9], -1
	s_and_b64 vcc, exec, s[8:9]
	s_cbranch_vccnz .LBB79_2
; %bb.1:
	s_load_dword s24, s[24:25], 0x0
.LBB79_2:
	s_andn2_b64 vcc, exec, s[2:3]
	s_cbranch_vccnz .LBB79_4
; %bb.3:
	s_load_dword s26, s[26:27], 0x0
.LBB79_4:
	s_waitcnt lgkmcnt(0)
	v_cmp_eq_f32_e64 s[2:3], s24, 0
	v_cmp_eq_f32_e64 s[8:9], s26, 1.0
	s_and_b64 s[2:3], s[2:3], s[8:9]
	s_and_b64 vcc, exec, s[2:3]
	s_cbranch_vccnz .LBB79_30
; %bb.5:
	s_load_dword s2, s[4:5], 0x9c
	s_load_dwordx4 s[16:19], s[4:5], 0x8
	v_mov_b32_e32 v2, 0
	s_waitcnt lgkmcnt(0)
	s_and_b32 s2, s2, 0xffff
	s_mul_i32 s6, s6, s2
	v_add_u32_e32 v3, s6, v0
	v_lshrrev_b32_e32 v1, 6, v3
	v_cmp_gt_i64_e32 vcc, s[16:17], v[1:2]
	s_and_saveexec_b64 s[2:3], vcc
	s_cbranch_execz .LBB79_30
; %bb.6:
	v_cmp_lt_i64_e64 s[2:3], s[18:19], 1
	s_and_b64 vcc, exec, s[2:3]
	s_cbranch_vccnz .LBB79_30
; %bb.7:
	s_load_dwordx8 s[8:15], s[4:5], 0x30
	v_lshlrev_b32_e32 v1, 3, v1
	v_and_b32_e32 v12, 31, v0
	v_lshrrev_b32_e32 v0, 5, v0
	v_lshrrev_b32_e32 v2, 5, v3
	s_waitcnt lgkmcnt(0)
	global_load_dwordx4 v[4:7], v1, s[8:9]
	s_load_dword s2, s[4:5], 0x0
	s_load_dwordx4 s[20:23], s[4:5], 0x68
	s_load_dwordx2 s[6:7], s[4:5], 0x50
	v_lshrrev_b32_e32 v1, 4, v3
	s_cmp_lg_u32 s0, 1
	v_lshlrev_b32_e32 v13, 8, v0
	v_mul_u32_u24_e32 v0, 0xc0, v0
	v_and_b32_e32 v3, 2, v1
	s_cselect_b64 s[8:9], -1, 0
	v_or_b32_e32 v14, 0x200, v0
	s_waitcnt lgkmcnt(0)
	s_cmp_eq_u32 s2, 0
	v_mad_u64_u32 v[0:1], s[2:3], v2, s22, 0
	v_mov_b32_e32 v10, s13
	v_add_co_u32_e32 v18, vcc, s12, v3
	v_lshlrev_b32_e32 v9, 2, v2
	v_addc_co_u32_e32 v10, vcc, 0, v10, vcc
	v_mad_u64_u32 v[1:2], s[2:3], v2, s23, v[1:2]
	v_mov_b32_e32 v16, s21
	v_add_co_u32_e32 v15, vcc, s20, v9
	v_addc_co_u32_e32 v16, vcc, 0, v16, vcc
	v_add_co_u32_e32 v3, vcc, v18, v3
	v_addc_co_u32_e32 v9, vcc, 0, v10, vcc
	v_lshlrev_b64 v[0:1], 2, v[0:1]
	s_cselect_b64 vcc, -1, 0
	v_mov_b32_e32 v11, s21
	v_cndmask_b32_e32 v17, v10, v9, vcc
	v_cndmask_b32_e32 v18, v18, v3, vcc
	s_and_b64 s[2:3], vcc, exec
	v_add_co_u32_e32 v19, vcc, s20, v0
	v_addc_co_u32_e32 v20, vcc, v11, v1, vcc
	s_mov_b32 s25, s1
	v_mul_u32_u24_e32 v8, 6, v12
	v_cmp_neq_f32_e64 s[4:5], s26, 0
	s_cselect_b32 s27, 2, 4
	s_mov_b64 s[12:13], 0
	v_add_u32_e32 v21, v14, v8
	s_waitcnt vmcnt(0)
	v_subrev_co_u32_e32 v0, vcc, s1, v4
	v_subbrev_co_u32_e32 v1, vcc, 0, v5, vcc
	v_subrev_co_u32_e32 v2, vcc, s1, v6
	v_cmp_lt_i64_e64 s[0:1], v[4:5], v[6:7]
	v_subbrev_co_u32_e32 v3, vcc, 0, v7, vcc
	s_branch .LBB79_9
.LBB79_8:                               ;   in Loop: Header=BB79_9 Depth=1
	s_or_b64 exec, exec, s[2:3]
	s_add_u32 s12, s12, 32
	v_mov_b32_e32 v4, s18
	s_addc_u32 s13, s13, 0
	v_mov_b32_e32 v5, s19
	v_cmp_lt_i64_e32 vcc, s[12:13], v[4:5]
	s_cbranch_vccz .LBB79_30
.LBB79_9:                               ; =>This Loop Header: Depth=1
                                        ;     Child Loop BB79_12 Depth 2
                                        ;       Child Loop BB79_16 Depth 3
	v_mov_b32_e32 v5, s13
	v_or_b32_e32 v4, s12, v12
	v_mov_b32_e32 v22, 0
	s_and_saveexec_b64 s[16:17], s[0:1]
	s_cbranch_execz .LBB79_18
; %bb.10:                               ;   in Loop: Header=BB79_9 Depth=1
	v_lshlrev_b64 v[6:7], 1, v[4:5]
	v_mov_b32_e32 v8, s15
	v_add_co_u32_e64 v23, s[2:3], s14, v6
	v_cmp_gt_i64_e32 vcc, s[18:19], v[4:5]
	v_addc_co_u32_e64 v24, s[2:3], v8, v7, s[2:3]
	v_mov_b32_e32 v7, v1
	v_mov_b32_e32 v22, 0
	s_mov_b64 s[20:21], 0
	v_mov_b32_e32 v6, v0
	s_branch .LBB79_12
.LBB79_11:                              ;   in Loop: Header=BB79_12 Depth=2
	s_or_b64 exec, exec, s[28:29]
	v_add_co_u32_e64 v6, s[2:3], 32, v6
	v_addc_co_u32_e64 v7, s[2:3], 0, v7, s[2:3]
	v_cmp_ge_i64_e64 s[2:3], v[6:7], v[2:3]
	s_or_b64 s[20:21], s[2:3], s[20:21]
	s_andn2_b64 exec, exec, s[20:21]
	s_cbranch_execz .LBB79_17
.LBB79_12:                              ;   Parent Loop BB79_9 Depth=1
                                        ; =>  This Loop Header: Depth=2
                                        ;       Child Loop BB79_16 Depth 3
	v_add_co_u32_e64 v10, s[2:3], v6, v12
	v_addc_co_u32_e64 v11, s[2:3], 0, v7, s[2:3]
	v_cmp_lt_i64_e64 s[2:3], v[10:11], v[2:3]
	v_mov_b32_e32 v8, 0
	v_mov_b32_e32 v9, 0
	;; [unrolled: 1-line block ×4, first 2 shown]
	s_and_saveexec_b64 s[28:29], s[2:3]
	s_cbranch_execz .LBB79_14
; %bb.13:                               ;   in Loop: Header=BB79_12 Depth=2
	v_lshlrev_b64 v[8:9], 3, v[10:11]
	v_mov_b32_e32 v11, s11
	v_add_co_u32_e64 v10, s[2:3], s10, v8
	v_addc_co_u32_e64 v11, s[2:3], v11, v9, s[2:3]
	global_load_dwordx2 v[10:11], v[10:11], off
	v_add_co_u32_e64 v8, s[2:3], v18, v8
	v_addc_co_u32_e64 v9, s[2:3], v17, v9, s[2:3]
	v_add_co_u32_e64 v27, s[2:3], s27, v8
	v_addc_co_u32_e64 v28, s[2:3], 0, v9, s[2:3]
	global_load_ushort v25, v[8:9], off
	global_load_ushort v26, v[27:28], off
	s_waitcnt vmcnt(2)
	v_subrev_co_u32_e64 v8, s[2:3], s25, v10
	v_subbrev_co_u32_e64 v9, s[2:3], 0, v11, s[2:3]
	v_lshlrev_b64 v[8:9], 1, v[8:9]
.LBB79_14:                              ;   in Loop: Header=BB79_12 Depth=2
	s_or_b64 exec, exec, s[28:29]
	v_lshl_or_b32 v10, v12, 3, v13
	ds_write_b64 v10, v[8:9]
	s_waitcnt vmcnt(1)
	ds_write_b16 v21, v25
	s_waitcnt vmcnt(0)
	ds_write_b16 v21, v26 offset:2
	s_waitcnt lgkmcnt(0)
	; wave barrier
	s_and_saveexec_b64 s[28:29], vcc
	s_cbranch_execz .LBB79_11
; %bb.15:                               ;   in Loop: Header=BB79_12 Depth=2
	s_mov_b32 s30, 0
	v_mov_b32_e32 v8, v14
.LBB79_16:                              ;   Parent Loop BB79_9 Depth=1
                                        ;     Parent Loop BB79_12 Depth=2
                                        ; =>    This Inner Loop Header: Depth=3
	v_add_u32_e32 v9, s30, v13
	ds_read_b128 v[25:28], v9
	s_lshl_b64 s[34:35], s[6:7], 1
	v_mov_b32_e32 v11, s35
	s_add_i32 s30, s30, 16
	s_cmpk_lg_i32 s30, 0x100
	s_waitcnt lgkmcnt(0)
	v_mul_lo_u32 v29, v26, s6
	v_mul_lo_u32 v30, v25, s7
	v_mad_u64_u32 v[9:10], s[2:3], v25, s6, 0
	v_mul_lo_u32 v28, v28, s6
	v_mul_lo_u32 v31, v27, s7
	v_mad_u64_u32 v[25:26], s[2:3], v27, s6, 0
	v_add3_u32 v10, v10, v30, v29
	v_lshlrev_b64 v[9:10], 1, v[9:10]
	v_add3_u32 v26, v26, v31, v28
	v_lshlrev_b64 v[25:26], 1, v[25:26]
	v_add_co_u32_e64 v9, s[2:3], v23, v9
	v_addc_co_u32_e64 v10, s[2:3], v24, v10, s[2:3]
	v_add_co_u32_e64 v25, s[2:3], v23, v25
	v_addc_co_u32_e64 v26, s[2:3], v24, v26, s[2:3]
	;; [unrolled: 2-line block ×4, first 2 shown]
	global_load_ushort v11, v[9:10], off
	global_load_ushort v31, v[27:28], off
	;; [unrolled: 1-line block ×4, first 2 shown]
	ds_read_b32 v9, v8
	ds_read_u16 v10, v8 offset:6
	ds_read_u16 v25, v8 offset:8
	v_add_u32_e32 v8, 12, v8
	s_waitcnt vmcnt(3) lgkmcnt(2)
	v_fma_mix_f32 v11, v9, v11, v22 op_sel_hi:[1,1,0]
	s_waitcnt vmcnt(2)
	v_fma_mix_f32 v9, v9, v31, v11 op_sel:[1,0,0] op_sel_hi:[1,1,0]
	s_waitcnt vmcnt(1) lgkmcnt(1)
	v_fma_mix_f32 v9, v10, v32, v9 op_sel_hi:[1,1,0]
	s_waitcnt vmcnt(0) lgkmcnt(0)
	v_fma_mix_f32 v22, v25, v33, v9 op_sel_hi:[1,1,0]
	s_cbranch_scc1 .LBB79_16
	s_branch .LBB79_11
.LBB79_17:                              ;   in Loop: Header=BB79_9 Depth=1
	s_or_b64 exec, exec, s[20:21]
.LBB79_18:                              ;   in Loop: Header=BB79_9 Depth=1
	s_or_b64 exec, exec, s[16:17]
	v_cmp_gt_i64_e32 vcc, s[18:19], v[4:5]
	s_and_saveexec_b64 s[2:3], vcc
	s_cbranch_execz .LBB79_8
; %bb.19:                               ;   in Loop: Header=BB79_9 Depth=1
	s_mov_b64 s[16:17], -1
	s_and_b64 vcc, exec, s[4:5]
	s_cbranch_vccz .LBB79_25
; %bb.20:                               ;   in Loop: Header=BB79_9 Depth=1
	s_and_b64 vcc, exec, s[8:9]
	s_cbranch_vccz .LBB79_22
; %bb.21:                               ;   in Loop: Header=BB79_9 Depth=1
	v_lshlrev_b64 v[6:7], 2, v[4:5]
	v_mul_f32_e32 v9, s24, v22
	v_add_co_u32_e32 v6, vcc, v19, v6
	v_addc_co_u32_e32 v7, vcc, v20, v7, vcc
	global_load_dword v8, v[6:7], off
	s_mov_b64 s[16:17], 0
	s_waitcnt vmcnt(0)
	v_fmac_f32_e32 v9, s26, v8
	global_store_dword v[6:7], v9, off
.LBB79_22:                              ;   in Loop: Header=BB79_9 Depth=1
	s_andn2_b64 vcc, exec, s[16:17]
	s_cbranch_vccnz .LBB79_24
; %bb.23:                               ;   in Loop: Header=BB79_9 Depth=1
	v_mul_lo_u32 v8, v5, s22
	v_mul_lo_u32 v9, v4, s23
	v_mad_u64_u32 v[6:7], s[16:17], v4, s22, 0
	v_add3_u32 v7, v7, v9, v8
	v_lshlrev_b64 v[6:7], 2, v[6:7]
	v_mul_f32_e32 v9, s24, v22
	v_add_co_u32_e32 v6, vcc, v15, v6
	v_addc_co_u32_e32 v7, vcc, v16, v7, vcc
	global_load_dword v8, v[6:7], off
	s_waitcnt vmcnt(0)
	v_fmac_f32_e32 v9, s26, v8
	global_store_dword v[6:7], v9, off
.LBB79_24:                              ;   in Loop: Header=BB79_9 Depth=1
	s_mov_b64 s[16:17], 0
.LBB79_25:                              ;   in Loop: Header=BB79_9 Depth=1
	s_andn2_b64 vcc, exec, s[16:17]
	s_cbranch_vccnz .LBB79_8
; %bb.26:                               ;   in Loop: Header=BB79_9 Depth=1
	v_mul_f32_e32 v6, s24, v22
	s_mov_b64 s[16:17], -1
	s_and_b64 vcc, exec, s[8:9]
	s_cbranch_vccz .LBB79_28
; %bb.27:                               ;   in Loop: Header=BB79_9 Depth=1
	v_lshlrev_b64 v[7:8], 2, v[4:5]
	s_mov_b64 s[16:17], 0
	v_add_co_u32_e32 v7, vcc, v19, v7
	v_addc_co_u32_e32 v8, vcc, v20, v8, vcc
	global_store_dword v[7:8], v6, off
.LBB79_28:                              ;   in Loop: Header=BB79_9 Depth=1
	s_andn2_b64 vcc, exec, s[16:17]
	s_cbranch_vccnz .LBB79_8
; %bb.29:                               ;   in Loop: Header=BB79_9 Depth=1
	v_mul_lo_u32 v7, v5, s22
	v_mul_lo_u32 v8, v4, s23
	v_mad_u64_u32 v[4:5], s[16:17], v4, s22, 0
	v_add3_u32 v5, v5, v8, v7
	v_lshlrev_b64 v[4:5], 2, v[4:5]
	v_add_co_u32_e32 v4, vcc, v15, v4
	v_addc_co_u32_e32 v5, vcc, v16, v5, vcc
	global_store_dword v[4:5], v6, off
	s_branch .LBB79_8
.LBB79_30:
	s_endpgm
	.section	.rodata,"a",@progbits
	.p2align	6, 0x0
	.amdhsa_kernel _ZN9rocsparseL29bsrmmnt_small_blockdim_kernelILj64ELj32ELj2EllDF16_DF16_ffEEv20rocsparse_direction_T3_S2_llNS_24const_host_device_scalarIT7_EEPKT2_PKS2_PKT4_PKT5_llS5_PT6_ll16rocsparse_order_21rocsparse_index_base_b
		.amdhsa_group_segment_fixed_size 896
		.amdhsa_private_segment_fixed_size 0
		.amdhsa_kernarg_size 400
		.amdhsa_user_sgpr_count 6
		.amdhsa_user_sgpr_private_segment_buffer 1
		.amdhsa_user_sgpr_dispatch_ptr 0
		.amdhsa_user_sgpr_queue_ptr 0
		.amdhsa_user_sgpr_kernarg_segment_ptr 1
		.amdhsa_user_sgpr_dispatch_id 0
		.amdhsa_user_sgpr_flat_scratch_init 0
		.amdhsa_user_sgpr_private_segment_size 0
		.amdhsa_uses_dynamic_stack 0
		.amdhsa_system_sgpr_private_segment_wavefront_offset 0
		.amdhsa_system_sgpr_workgroup_id_x 1
		.amdhsa_system_sgpr_workgroup_id_y 0
		.amdhsa_system_sgpr_workgroup_id_z 0
		.amdhsa_system_sgpr_workgroup_info 0
		.amdhsa_system_vgpr_workitem_id 0
		.amdhsa_next_free_vgpr 34
		.amdhsa_next_free_sgpr 36
		.amdhsa_reserve_vcc 1
		.amdhsa_reserve_flat_scratch 0
		.amdhsa_float_round_mode_32 0
		.amdhsa_float_round_mode_16_64 0
		.amdhsa_float_denorm_mode_32 3
		.amdhsa_float_denorm_mode_16_64 3
		.amdhsa_dx10_clamp 1
		.amdhsa_ieee_mode 1
		.amdhsa_fp16_overflow 0
		.amdhsa_exception_fp_ieee_invalid_op 0
		.amdhsa_exception_fp_denorm_src 0
		.amdhsa_exception_fp_ieee_div_zero 0
		.amdhsa_exception_fp_ieee_overflow 0
		.amdhsa_exception_fp_ieee_underflow 0
		.amdhsa_exception_fp_ieee_inexact 0
		.amdhsa_exception_int_div_zero 0
	.end_amdhsa_kernel
	.section	.text._ZN9rocsparseL29bsrmmnt_small_blockdim_kernelILj64ELj32ELj2EllDF16_DF16_ffEEv20rocsparse_direction_T3_S2_llNS_24const_host_device_scalarIT7_EEPKT2_PKS2_PKT4_PKT5_llS5_PT6_ll16rocsparse_order_21rocsparse_index_base_b,"axG",@progbits,_ZN9rocsparseL29bsrmmnt_small_blockdim_kernelILj64ELj32ELj2EllDF16_DF16_ffEEv20rocsparse_direction_T3_S2_llNS_24const_host_device_scalarIT7_EEPKT2_PKS2_PKT4_PKT5_llS5_PT6_ll16rocsparse_order_21rocsparse_index_base_b,comdat
.Lfunc_end79:
	.size	_ZN9rocsparseL29bsrmmnt_small_blockdim_kernelILj64ELj32ELj2EllDF16_DF16_ffEEv20rocsparse_direction_T3_S2_llNS_24const_host_device_scalarIT7_EEPKT2_PKS2_PKT4_PKT5_llS5_PT6_ll16rocsparse_order_21rocsparse_index_base_b, .Lfunc_end79-_ZN9rocsparseL29bsrmmnt_small_blockdim_kernelILj64ELj32ELj2EllDF16_DF16_ffEEv20rocsparse_direction_T3_S2_llNS_24const_host_device_scalarIT7_EEPKT2_PKS2_PKT4_PKT5_llS5_PT6_ll16rocsparse_order_21rocsparse_index_base_b
                                        ; -- End function
	.set _ZN9rocsparseL29bsrmmnt_small_blockdim_kernelILj64ELj32ELj2EllDF16_DF16_ffEEv20rocsparse_direction_T3_S2_llNS_24const_host_device_scalarIT7_EEPKT2_PKS2_PKT4_PKT5_llS5_PT6_ll16rocsparse_order_21rocsparse_index_base_b.num_vgpr, 34
	.set _ZN9rocsparseL29bsrmmnt_small_blockdim_kernelILj64ELj32ELj2EllDF16_DF16_ffEEv20rocsparse_direction_T3_S2_llNS_24const_host_device_scalarIT7_EEPKT2_PKS2_PKT4_PKT5_llS5_PT6_ll16rocsparse_order_21rocsparse_index_base_b.num_agpr, 0
	.set _ZN9rocsparseL29bsrmmnt_small_blockdim_kernelILj64ELj32ELj2EllDF16_DF16_ffEEv20rocsparse_direction_T3_S2_llNS_24const_host_device_scalarIT7_EEPKT2_PKS2_PKT4_PKT5_llS5_PT6_ll16rocsparse_order_21rocsparse_index_base_b.numbered_sgpr, 36
	.set _ZN9rocsparseL29bsrmmnt_small_blockdim_kernelILj64ELj32ELj2EllDF16_DF16_ffEEv20rocsparse_direction_T3_S2_llNS_24const_host_device_scalarIT7_EEPKT2_PKS2_PKT4_PKT5_llS5_PT6_ll16rocsparse_order_21rocsparse_index_base_b.num_named_barrier, 0
	.set _ZN9rocsparseL29bsrmmnt_small_blockdim_kernelILj64ELj32ELj2EllDF16_DF16_ffEEv20rocsparse_direction_T3_S2_llNS_24const_host_device_scalarIT7_EEPKT2_PKS2_PKT4_PKT5_llS5_PT6_ll16rocsparse_order_21rocsparse_index_base_b.private_seg_size, 0
	.set _ZN9rocsparseL29bsrmmnt_small_blockdim_kernelILj64ELj32ELj2EllDF16_DF16_ffEEv20rocsparse_direction_T3_S2_llNS_24const_host_device_scalarIT7_EEPKT2_PKS2_PKT4_PKT5_llS5_PT6_ll16rocsparse_order_21rocsparse_index_base_b.uses_vcc, 1
	.set _ZN9rocsparseL29bsrmmnt_small_blockdim_kernelILj64ELj32ELj2EllDF16_DF16_ffEEv20rocsparse_direction_T3_S2_llNS_24const_host_device_scalarIT7_EEPKT2_PKS2_PKT4_PKT5_llS5_PT6_ll16rocsparse_order_21rocsparse_index_base_b.uses_flat_scratch, 0
	.set _ZN9rocsparseL29bsrmmnt_small_blockdim_kernelILj64ELj32ELj2EllDF16_DF16_ffEEv20rocsparse_direction_T3_S2_llNS_24const_host_device_scalarIT7_EEPKT2_PKS2_PKT4_PKT5_llS5_PT6_ll16rocsparse_order_21rocsparse_index_base_b.has_dyn_sized_stack, 0
	.set _ZN9rocsparseL29bsrmmnt_small_blockdim_kernelILj64ELj32ELj2EllDF16_DF16_ffEEv20rocsparse_direction_T3_S2_llNS_24const_host_device_scalarIT7_EEPKT2_PKS2_PKT4_PKT5_llS5_PT6_ll16rocsparse_order_21rocsparse_index_base_b.has_recursion, 0
	.set _ZN9rocsparseL29bsrmmnt_small_blockdim_kernelILj64ELj32ELj2EllDF16_DF16_ffEEv20rocsparse_direction_T3_S2_llNS_24const_host_device_scalarIT7_EEPKT2_PKS2_PKT4_PKT5_llS5_PT6_ll16rocsparse_order_21rocsparse_index_base_b.has_indirect_call, 0
	.section	.AMDGPU.csdata,"",@progbits
; Kernel info:
; codeLenInByte = 1384
; TotalNumSgprs: 40
; NumVgprs: 34
; ScratchSize: 0
; MemoryBound: 0
; FloatMode: 240
; IeeeMode: 1
; LDSByteSize: 896 bytes/workgroup (compile time only)
; SGPRBlocks: 4
; VGPRBlocks: 8
; NumSGPRsForWavesPerEU: 40
; NumVGPRsForWavesPerEU: 34
; Occupancy: 7
; WaveLimiterHint : 1
; COMPUTE_PGM_RSRC2:SCRATCH_EN: 0
; COMPUTE_PGM_RSRC2:USER_SGPR: 6
; COMPUTE_PGM_RSRC2:TRAP_HANDLER: 0
; COMPUTE_PGM_RSRC2:TGID_X_EN: 1
; COMPUTE_PGM_RSRC2:TGID_Y_EN: 0
; COMPUTE_PGM_RSRC2:TGID_Z_EN: 0
; COMPUTE_PGM_RSRC2:TIDIG_COMP_CNT: 0
	.section	.text._ZN9rocsparseL29bsrmmnt_small_blockdim_kernelILj64ELj64ELj2EllDF16_DF16_ffEEv20rocsparse_direction_T3_S2_llNS_24const_host_device_scalarIT7_EEPKT2_PKS2_PKT4_PKT5_llS5_PT6_ll16rocsparse_order_21rocsparse_index_base_b,"axG",@progbits,_ZN9rocsparseL29bsrmmnt_small_blockdim_kernelILj64ELj64ELj2EllDF16_DF16_ffEEv20rocsparse_direction_T3_S2_llNS_24const_host_device_scalarIT7_EEPKT2_PKS2_PKT4_PKT5_llS5_PT6_ll16rocsparse_order_21rocsparse_index_base_b,comdat
	.globl	_ZN9rocsparseL29bsrmmnt_small_blockdim_kernelILj64ELj64ELj2EllDF16_DF16_ffEEv20rocsparse_direction_T3_S2_llNS_24const_host_device_scalarIT7_EEPKT2_PKS2_PKT4_PKT5_llS5_PT6_ll16rocsparse_order_21rocsparse_index_base_b ; -- Begin function _ZN9rocsparseL29bsrmmnt_small_blockdim_kernelILj64ELj64ELj2EllDF16_DF16_ffEEv20rocsparse_direction_T3_S2_llNS_24const_host_device_scalarIT7_EEPKT2_PKS2_PKT4_PKT5_llS5_PT6_ll16rocsparse_order_21rocsparse_index_base_b
	.p2align	8
	.type	_ZN9rocsparseL29bsrmmnt_small_blockdim_kernelILj64ELj64ELj2EllDF16_DF16_ffEEv20rocsparse_direction_T3_S2_llNS_24const_host_device_scalarIT7_EEPKT2_PKS2_PKT4_PKT5_llS5_PT6_ll16rocsparse_order_21rocsparse_index_base_b,@function
_ZN9rocsparseL29bsrmmnt_small_blockdim_kernelILj64ELj64ELj2EllDF16_DF16_ffEEv20rocsparse_direction_T3_S2_llNS_24const_host_device_scalarIT7_EEPKT2_PKS2_PKT4_PKT5_llS5_PT6_ll16rocsparse_order_21rocsparse_index_base_b: ; @_ZN9rocsparseL29bsrmmnt_small_blockdim_kernelILj64ELj64ELj2EllDF16_DF16_ffEEv20rocsparse_direction_T3_S2_llNS_24const_host_device_scalarIT7_EEPKT2_PKS2_PKT4_PKT5_llS5_PT6_ll16rocsparse_order_21rocsparse_index_base_b
; %bb.0:
	s_load_dwordx4 s[0:3], s[4:5], 0x80
	s_load_dwordx2 s[24:25], s[4:5], 0x28
	s_load_dwordx2 s[26:27], s[4:5], 0x60
	s_waitcnt lgkmcnt(0)
	s_bitcmp1_b32 s2, 0
	s_cselect_b64 s[8:9], -1, 0
	s_xor_b64 s[2:3], s[8:9], -1
	s_and_b64 vcc, exec, s[8:9]
	s_cbranch_vccnz .LBB80_2
; %bb.1:
	s_load_dword s24, s[24:25], 0x0
.LBB80_2:
	s_andn2_b64 vcc, exec, s[2:3]
	s_cbranch_vccnz .LBB80_4
; %bb.3:
	s_load_dword s26, s[26:27], 0x0
.LBB80_4:
	s_waitcnt lgkmcnt(0)
	v_cmp_eq_f32_e64 s[2:3], s24, 0
	v_cmp_eq_f32_e64 s[8:9], s26, 1.0
	s_and_b64 s[2:3], s[2:3], s[8:9]
	s_and_b64 vcc, exec, s[2:3]
	s_cbranch_vccnz .LBB80_30
; %bb.5:
	s_load_dword s2, s[4:5], 0x9c
	s_load_dwordx4 s[16:19], s[4:5], 0x8
	v_mov_b32_e32 v2, 0
	s_waitcnt lgkmcnt(0)
	s_and_b32 s2, s2, 0xffff
	s_mul_i32 s6, s6, s2
	v_add_u32_e32 v3, s6, v0
	v_lshrrev_b32_e32 v1, 7, v3
	v_cmp_gt_i64_e32 vcc, s[16:17], v[1:2]
	s_and_saveexec_b64 s[2:3], vcc
	s_cbranch_execz .LBB80_30
; %bb.6:
	v_cmp_lt_i64_e64 s[2:3], s[18:19], 1
	s_and_b64 vcc, exec, s[2:3]
	s_cbranch_vccnz .LBB80_30
; %bb.7:
	s_load_dwordx8 s[8:15], s[4:5], 0x30
	v_lshlrev_b32_e32 v1, 3, v1
	v_lshrrev_b32_e32 v4, 6, v3
	v_lshlrev_b32_e32 v10, 2, v4
	s_cmp_lg_u32 s0, 1
	s_waitcnt lgkmcnt(0)
	global_load_dwordx4 v[5:8], v1, s[8:9]
	s_load_dword s2, s[4:5], 0x0
	s_load_dwordx4 s[20:23], s[4:5], 0x68
	s_load_dwordx2 s[6:7], s[4:5], 0x50
	v_lshrrev_b32_e32 v1, 5, v3
	v_and_b32_e32 v3, 2, v1
	v_mov_b32_e32 v11, s13
	v_add_co_u32_e32 v17, vcc, s12, v3
	v_addc_co_u32_e32 v11, vcc, 0, v11, vcc
	s_waitcnt lgkmcnt(0)
	v_mov_b32_e32 v15, s21
	v_add_co_u32_e32 v14, vcc, s20, v10
	s_cselect_b64 s[8:9], -1, 0
	s_cmp_eq_u32 s2, 0
	v_mad_u64_u32 v[1:2], s[2:3], v4, s22, 0
	v_addc_co_u32_e32 v15, vcc, 0, v15, vcc
	v_add_co_u32_e32 v10, vcc, v17, v3
	v_addc_co_u32_e32 v3, vcc, 0, v11, vcc
	s_cselect_b64 vcc, -1, 0
	v_cndmask_b32_e32 v16, v11, v3, vcc
	v_mad_u64_u32 v[2:3], s[2:3], v4, s23, v[2:3]
	v_mov_b32_e32 v12, s21
	v_cndmask_b32_e32 v17, v17, v10, vcc
	v_lshlrev_b64 v[1:2], 2, v[1:2]
	s_and_b64 s[2:3], vcc, exec
	v_add_co_u32_e32 v18, vcc, s20, v1
	v_addc_co_u32_e32 v19, vcc, v12, v2, vcc
	s_mov_b32 s25, s1
	v_mul_u32_u24_e32 v9, 6, v0
	v_lshlrev_b32_e32 v13, 3, v0
	v_cmp_neq_f32_e64 s[4:5], s26, 0
	s_cselect_b32 s27, 2, 4
	s_mov_b64 s[12:13], 0
	v_add_u32_e32 v20, 0x200, v9
	s_waitcnt vmcnt(0)
	v_subrev_co_u32_e32 v1, vcc, s1, v5
	v_subbrev_co_u32_e32 v2, vcc, 0, v6, vcc
	v_subrev_co_u32_e32 v3, vcc, s1, v7
	v_cmp_lt_i64_e64 s[0:1], v[5:6], v[7:8]
	v_subbrev_co_u32_e32 v4, vcc, 0, v8, vcc
	s_branch .LBB80_9
.LBB80_8:                               ;   in Loop: Header=BB80_9 Depth=1
	s_or_b64 exec, exec, s[2:3]
	s_add_u32 s12, s12, 64
	v_mov_b32_e32 v5, s18
	s_addc_u32 s13, s13, 0
	v_mov_b32_e32 v6, s19
	v_cmp_lt_i64_e32 vcc, s[12:13], v[5:6]
	s_cbranch_vccz .LBB80_30
.LBB80_9:                               ; =>This Loop Header: Depth=1
                                        ;     Child Loop BB80_12 Depth 2
                                        ;       Child Loop BB80_16 Depth 3
	v_mov_b32_e32 v6, s13
	v_or_b32_e32 v5, s12, v0
	v_mov_b32_e32 v21, 0
	s_and_saveexec_b64 s[16:17], s[0:1]
	s_cbranch_execz .LBB80_18
; %bb.10:                               ;   in Loop: Header=BB80_9 Depth=1
	v_lshlrev_b64 v[7:8], 1, v[5:6]
	v_mov_b32_e32 v9, s15
	v_add_co_u32_e64 v22, s[2:3], s14, v7
	v_cmp_gt_i64_e32 vcc, s[18:19], v[5:6]
	v_addc_co_u32_e64 v23, s[2:3], v9, v8, s[2:3]
	v_mov_b32_e32 v8, v2
	v_mov_b32_e32 v21, 0
	s_mov_b64 s[20:21], 0
	v_mov_b32_e32 v7, v1
	s_branch .LBB80_12
.LBB80_11:                              ;   in Loop: Header=BB80_12 Depth=2
	s_or_b64 exec, exec, s[28:29]
	v_add_co_u32_e64 v7, s[2:3], 64, v7
	v_addc_co_u32_e64 v8, s[2:3], 0, v8, s[2:3]
	v_cmp_ge_i64_e64 s[2:3], v[7:8], v[3:4]
	s_or_b64 s[20:21], s[2:3], s[20:21]
	s_andn2_b64 exec, exec, s[20:21]
	s_cbranch_execz .LBB80_17
.LBB80_12:                              ;   Parent Loop BB80_9 Depth=1
                                        ; =>  This Loop Header: Depth=2
                                        ;       Child Loop BB80_16 Depth 3
	v_add_co_u32_e64 v11, s[2:3], v7, v0
	v_addc_co_u32_e64 v12, s[2:3], 0, v8, s[2:3]
	v_cmp_lt_i64_e64 s[2:3], v[11:12], v[3:4]
	v_mov_b32_e32 v9, 0
	v_mov_b32_e32 v10, 0
	;; [unrolled: 1-line block ×4, first 2 shown]
	s_and_saveexec_b64 s[28:29], s[2:3]
	s_cbranch_execz .LBB80_14
; %bb.13:                               ;   in Loop: Header=BB80_12 Depth=2
	v_lshlrev_b64 v[9:10], 3, v[11:12]
	v_mov_b32_e32 v12, s11
	v_add_co_u32_e64 v11, s[2:3], s10, v9
	v_addc_co_u32_e64 v12, s[2:3], v12, v10, s[2:3]
	global_load_dwordx2 v[11:12], v[11:12], off
	v_add_co_u32_e64 v9, s[2:3], v17, v9
	v_addc_co_u32_e64 v10, s[2:3], v16, v10, s[2:3]
	v_add_co_u32_e64 v26, s[2:3], s27, v9
	v_addc_co_u32_e64 v27, s[2:3], 0, v10, s[2:3]
	global_load_ushort v24, v[9:10], off
	global_load_ushort v25, v[26:27], off
	s_waitcnt vmcnt(2)
	v_subrev_co_u32_e64 v9, s[2:3], s25, v11
	v_subbrev_co_u32_e64 v10, s[2:3], 0, v12, s[2:3]
	v_lshlrev_b64 v[9:10], 1, v[9:10]
.LBB80_14:                              ;   in Loop: Header=BB80_12 Depth=2
	s_or_b64 exec, exec, s[28:29]
	ds_write_b64 v13, v[9:10]
	s_waitcnt vmcnt(1)
	ds_write_b16 v20, v24
	s_waitcnt vmcnt(0)
	ds_write_b16 v20, v25 offset:2
	s_waitcnt lgkmcnt(0)
	; wave barrier
	s_and_saveexec_b64 s[28:29], vcc
	s_cbranch_execz .LBB80_11
; %bb.15:                               ;   in Loop: Header=BB80_12 Depth=2
	s_mov_b32 s30, 0
	v_mov_b32_e32 v9, 0x200
.LBB80_16:                              ;   Parent Loop BB80_9 Depth=1
                                        ;     Parent Loop BB80_12 Depth=2
                                        ; =>    This Inner Loop Header: Depth=3
	v_mov_b32_e32 v10, s30
	ds_read_b128 v[24:27], v10
	s_lshl_b64 s[34:35], s[6:7], 1
	v_mov_b32_e32 v12, s35
	s_add_i32 s30, s30, 16
	s_waitcnt lgkmcnt(0)
	v_mul_lo_u32 v11, v25, s6
	v_readfirstlane_b32 s2, v24
	v_mul_lo_u32 v25, v27, s6
	s_mul_i32 s31, s2, s7
	s_mul_hi_u32 s33, s2, s6
	v_readfirstlane_b32 s3, v26
	s_mul_i32 s2, s2, s6
	s_add_i32 s33, s33, s31
	s_mul_i32 s35, s3, s7
	s_mul_hi_u32 s36, s3, s6
	v_mov_b32_e32 v10, s2
	v_add_u32_e32 v11, s33, v11
	s_mul_i32 s3, s3, s6
	s_add_i32 s36, s36, s35
	v_lshlrev_b64 v[10:11], 1, v[10:11]
	v_mov_b32_e32 v24, s3
	v_add_u32_e32 v25, s36, v25
	v_lshlrev_b64 v[24:25], 1, v[24:25]
	v_add_co_u32_e64 v10, s[2:3], v22, v10
	v_addc_co_u32_e64 v11, s[2:3], v23, v11, s[2:3]
	v_add_co_u32_e64 v24, s[2:3], v22, v24
	v_addc_co_u32_e64 v25, s[2:3], v23, v25, s[2:3]
	;; [unrolled: 2-line block ×4, first 2 shown]
	global_load_ushort v12, v[10:11], off
	global_load_ushort v30, v[26:27], off
	;; [unrolled: 1-line block ×4, first 2 shown]
	ds_read_b32 v10, v9
	ds_read_u16 v11, v9 offset:6
	ds_read_u16 v24, v9 offset:8
	v_add_u32_e32 v9, 12, v9
	s_cmpk_lg_i32 s30, 0x200
	s_waitcnt vmcnt(3) lgkmcnt(2)
	v_fma_mix_f32 v12, v10, v12, v21 op_sel_hi:[1,1,0]
	s_waitcnt vmcnt(2)
	v_fma_mix_f32 v10, v10, v30, v12 op_sel:[1,0,0] op_sel_hi:[1,1,0]
	s_waitcnt vmcnt(1) lgkmcnt(1)
	v_fma_mix_f32 v10, v11, v31, v10 op_sel_hi:[1,1,0]
	s_waitcnt vmcnt(0) lgkmcnt(0)
	v_fma_mix_f32 v21, v24, v32, v10 op_sel_hi:[1,1,0]
	s_cbranch_scc1 .LBB80_16
	s_branch .LBB80_11
.LBB80_17:                              ;   in Loop: Header=BB80_9 Depth=1
	s_or_b64 exec, exec, s[20:21]
.LBB80_18:                              ;   in Loop: Header=BB80_9 Depth=1
	s_or_b64 exec, exec, s[16:17]
	v_cmp_gt_i64_e32 vcc, s[18:19], v[5:6]
	s_and_saveexec_b64 s[2:3], vcc
	s_cbranch_execz .LBB80_8
; %bb.19:                               ;   in Loop: Header=BB80_9 Depth=1
	s_mov_b64 s[16:17], -1
	s_and_b64 vcc, exec, s[4:5]
	s_cbranch_vccz .LBB80_25
; %bb.20:                               ;   in Loop: Header=BB80_9 Depth=1
	s_and_b64 vcc, exec, s[8:9]
	s_cbranch_vccz .LBB80_22
; %bb.21:                               ;   in Loop: Header=BB80_9 Depth=1
	v_lshlrev_b64 v[7:8], 2, v[5:6]
	v_mul_f32_e32 v10, s24, v21
	v_add_co_u32_e32 v7, vcc, v18, v7
	v_addc_co_u32_e32 v8, vcc, v19, v8, vcc
	global_load_dword v9, v[7:8], off
	s_mov_b64 s[16:17], 0
	s_waitcnt vmcnt(0)
	v_fmac_f32_e32 v10, s26, v9
	global_store_dword v[7:8], v10, off
.LBB80_22:                              ;   in Loop: Header=BB80_9 Depth=1
	s_andn2_b64 vcc, exec, s[16:17]
	s_cbranch_vccnz .LBB80_24
; %bb.23:                               ;   in Loop: Header=BB80_9 Depth=1
	v_mul_lo_u32 v9, v6, s22
	v_mul_lo_u32 v10, v5, s23
	v_mad_u64_u32 v[7:8], s[16:17], v5, s22, 0
	v_add3_u32 v8, v8, v10, v9
	v_lshlrev_b64 v[7:8], 2, v[7:8]
	v_mul_f32_e32 v10, s24, v21
	v_add_co_u32_e32 v7, vcc, v14, v7
	v_addc_co_u32_e32 v8, vcc, v15, v8, vcc
	global_load_dword v9, v[7:8], off
	s_waitcnt vmcnt(0)
	v_fmac_f32_e32 v10, s26, v9
	global_store_dword v[7:8], v10, off
.LBB80_24:                              ;   in Loop: Header=BB80_9 Depth=1
	s_mov_b64 s[16:17], 0
.LBB80_25:                              ;   in Loop: Header=BB80_9 Depth=1
	s_andn2_b64 vcc, exec, s[16:17]
	s_cbranch_vccnz .LBB80_8
; %bb.26:                               ;   in Loop: Header=BB80_9 Depth=1
	v_mul_f32_e32 v7, s24, v21
	s_mov_b64 s[16:17], -1
	s_and_b64 vcc, exec, s[8:9]
	s_cbranch_vccz .LBB80_28
; %bb.27:                               ;   in Loop: Header=BB80_9 Depth=1
	v_lshlrev_b64 v[8:9], 2, v[5:6]
	s_mov_b64 s[16:17], 0
	v_add_co_u32_e32 v8, vcc, v18, v8
	v_addc_co_u32_e32 v9, vcc, v19, v9, vcc
	global_store_dword v[8:9], v7, off
.LBB80_28:                              ;   in Loop: Header=BB80_9 Depth=1
	s_andn2_b64 vcc, exec, s[16:17]
	s_cbranch_vccnz .LBB80_8
; %bb.29:                               ;   in Loop: Header=BB80_9 Depth=1
	v_mul_lo_u32 v8, v6, s22
	v_mul_lo_u32 v9, v5, s23
	v_mad_u64_u32 v[5:6], s[16:17], v5, s22, 0
	v_add3_u32 v6, v6, v9, v8
	v_lshlrev_b64 v[5:6], 2, v[5:6]
	v_add_co_u32_e32 v5, vcc, v14, v5
	v_addc_co_u32_e32 v6, vcc, v15, v6, vcc
	global_store_dword v[5:6], v7, off
	s_branch .LBB80_8
.LBB80_30:
	s_endpgm
	.section	.rodata,"a",@progbits
	.p2align	6, 0x0
	.amdhsa_kernel _ZN9rocsparseL29bsrmmnt_small_blockdim_kernelILj64ELj64ELj2EllDF16_DF16_ffEEv20rocsparse_direction_T3_S2_llNS_24const_host_device_scalarIT7_EEPKT2_PKS2_PKT4_PKT5_llS5_PT6_ll16rocsparse_order_21rocsparse_index_base_b
		.amdhsa_group_segment_fixed_size 896
		.amdhsa_private_segment_fixed_size 0
		.amdhsa_kernarg_size 400
		.amdhsa_user_sgpr_count 6
		.amdhsa_user_sgpr_private_segment_buffer 1
		.amdhsa_user_sgpr_dispatch_ptr 0
		.amdhsa_user_sgpr_queue_ptr 0
		.amdhsa_user_sgpr_kernarg_segment_ptr 1
		.amdhsa_user_sgpr_dispatch_id 0
		.amdhsa_user_sgpr_flat_scratch_init 0
		.amdhsa_user_sgpr_private_segment_size 0
		.amdhsa_uses_dynamic_stack 0
		.amdhsa_system_sgpr_private_segment_wavefront_offset 0
		.amdhsa_system_sgpr_workgroup_id_x 1
		.amdhsa_system_sgpr_workgroup_id_y 0
		.amdhsa_system_sgpr_workgroup_id_z 0
		.amdhsa_system_sgpr_workgroup_info 0
		.amdhsa_system_vgpr_workitem_id 0
		.amdhsa_next_free_vgpr 33
		.amdhsa_next_free_sgpr 37
		.amdhsa_reserve_vcc 1
		.amdhsa_reserve_flat_scratch 0
		.amdhsa_float_round_mode_32 0
		.amdhsa_float_round_mode_16_64 0
		.amdhsa_float_denorm_mode_32 3
		.amdhsa_float_denorm_mode_16_64 3
		.amdhsa_dx10_clamp 1
		.amdhsa_ieee_mode 1
		.amdhsa_fp16_overflow 0
		.amdhsa_exception_fp_ieee_invalid_op 0
		.amdhsa_exception_fp_denorm_src 0
		.amdhsa_exception_fp_ieee_div_zero 0
		.amdhsa_exception_fp_ieee_overflow 0
		.amdhsa_exception_fp_ieee_underflow 0
		.amdhsa_exception_fp_ieee_inexact 0
		.amdhsa_exception_int_div_zero 0
	.end_amdhsa_kernel
	.section	.text._ZN9rocsparseL29bsrmmnt_small_blockdim_kernelILj64ELj64ELj2EllDF16_DF16_ffEEv20rocsparse_direction_T3_S2_llNS_24const_host_device_scalarIT7_EEPKT2_PKS2_PKT4_PKT5_llS5_PT6_ll16rocsparse_order_21rocsparse_index_base_b,"axG",@progbits,_ZN9rocsparseL29bsrmmnt_small_blockdim_kernelILj64ELj64ELj2EllDF16_DF16_ffEEv20rocsparse_direction_T3_S2_llNS_24const_host_device_scalarIT7_EEPKT2_PKS2_PKT4_PKT5_llS5_PT6_ll16rocsparse_order_21rocsparse_index_base_b,comdat
.Lfunc_end80:
	.size	_ZN9rocsparseL29bsrmmnt_small_blockdim_kernelILj64ELj64ELj2EllDF16_DF16_ffEEv20rocsparse_direction_T3_S2_llNS_24const_host_device_scalarIT7_EEPKT2_PKS2_PKT4_PKT5_llS5_PT6_ll16rocsparse_order_21rocsparse_index_base_b, .Lfunc_end80-_ZN9rocsparseL29bsrmmnt_small_blockdim_kernelILj64ELj64ELj2EllDF16_DF16_ffEEv20rocsparse_direction_T3_S2_llNS_24const_host_device_scalarIT7_EEPKT2_PKS2_PKT4_PKT5_llS5_PT6_ll16rocsparse_order_21rocsparse_index_base_b
                                        ; -- End function
	.set _ZN9rocsparseL29bsrmmnt_small_blockdim_kernelILj64ELj64ELj2EllDF16_DF16_ffEEv20rocsparse_direction_T3_S2_llNS_24const_host_device_scalarIT7_EEPKT2_PKS2_PKT4_PKT5_llS5_PT6_ll16rocsparse_order_21rocsparse_index_base_b.num_vgpr, 33
	.set _ZN9rocsparseL29bsrmmnt_small_blockdim_kernelILj64ELj64ELj2EllDF16_DF16_ffEEv20rocsparse_direction_T3_S2_llNS_24const_host_device_scalarIT7_EEPKT2_PKS2_PKT4_PKT5_llS5_PT6_ll16rocsparse_order_21rocsparse_index_base_b.num_agpr, 0
	.set _ZN9rocsparseL29bsrmmnt_small_blockdim_kernelILj64ELj64ELj2EllDF16_DF16_ffEEv20rocsparse_direction_T3_S2_llNS_24const_host_device_scalarIT7_EEPKT2_PKS2_PKT4_PKT5_llS5_PT6_ll16rocsparse_order_21rocsparse_index_base_b.numbered_sgpr, 37
	.set _ZN9rocsparseL29bsrmmnt_small_blockdim_kernelILj64ELj64ELj2EllDF16_DF16_ffEEv20rocsparse_direction_T3_S2_llNS_24const_host_device_scalarIT7_EEPKT2_PKS2_PKT4_PKT5_llS5_PT6_ll16rocsparse_order_21rocsparse_index_base_b.num_named_barrier, 0
	.set _ZN9rocsparseL29bsrmmnt_small_blockdim_kernelILj64ELj64ELj2EllDF16_DF16_ffEEv20rocsparse_direction_T3_S2_llNS_24const_host_device_scalarIT7_EEPKT2_PKS2_PKT4_PKT5_llS5_PT6_ll16rocsparse_order_21rocsparse_index_base_b.private_seg_size, 0
	.set _ZN9rocsparseL29bsrmmnt_small_blockdim_kernelILj64ELj64ELj2EllDF16_DF16_ffEEv20rocsparse_direction_T3_S2_llNS_24const_host_device_scalarIT7_EEPKT2_PKS2_PKT4_PKT5_llS5_PT6_ll16rocsparse_order_21rocsparse_index_base_b.uses_vcc, 1
	.set _ZN9rocsparseL29bsrmmnt_small_blockdim_kernelILj64ELj64ELj2EllDF16_DF16_ffEEv20rocsparse_direction_T3_S2_llNS_24const_host_device_scalarIT7_EEPKT2_PKS2_PKT4_PKT5_llS5_PT6_ll16rocsparse_order_21rocsparse_index_base_b.uses_flat_scratch, 0
	.set _ZN9rocsparseL29bsrmmnt_small_blockdim_kernelILj64ELj64ELj2EllDF16_DF16_ffEEv20rocsparse_direction_T3_S2_llNS_24const_host_device_scalarIT7_EEPKT2_PKS2_PKT4_PKT5_llS5_PT6_ll16rocsparse_order_21rocsparse_index_base_b.has_dyn_sized_stack, 0
	.set _ZN9rocsparseL29bsrmmnt_small_blockdim_kernelILj64ELj64ELj2EllDF16_DF16_ffEEv20rocsparse_direction_T3_S2_llNS_24const_host_device_scalarIT7_EEPKT2_PKS2_PKT4_PKT5_llS5_PT6_ll16rocsparse_order_21rocsparse_index_base_b.has_recursion, 0
	.set _ZN9rocsparseL29bsrmmnt_small_blockdim_kernelILj64ELj64ELj2EllDF16_DF16_ffEEv20rocsparse_direction_T3_S2_llNS_24const_host_device_scalarIT7_EEPKT2_PKS2_PKT4_PKT5_llS5_PT6_ll16rocsparse_order_21rocsparse_index_base_b.has_indirect_call, 0
	.section	.AMDGPU.csdata,"",@progbits
; Kernel info:
; codeLenInByte = 1368
; TotalNumSgprs: 41
; NumVgprs: 33
; ScratchSize: 0
; MemoryBound: 0
; FloatMode: 240
; IeeeMode: 1
; LDSByteSize: 896 bytes/workgroup (compile time only)
; SGPRBlocks: 5
; VGPRBlocks: 8
; NumSGPRsForWavesPerEU: 41
; NumVGPRsForWavesPerEU: 33
; Occupancy: 7
; WaveLimiterHint : 1
; COMPUTE_PGM_RSRC2:SCRATCH_EN: 0
; COMPUTE_PGM_RSRC2:USER_SGPR: 6
; COMPUTE_PGM_RSRC2:TRAP_HANDLER: 0
; COMPUTE_PGM_RSRC2:TGID_X_EN: 1
; COMPUTE_PGM_RSRC2:TGID_Y_EN: 0
; COMPUTE_PGM_RSRC2:TGID_Z_EN: 0
; COMPUTE_PGM_RSRC2:TIDIG_COMP_CNT: 0
	.section	.text._ZN9rocsparseL29bsrmmnt_small_blockdim_kernelILj64ELj8ELj2EiiaaiiEEv20rocsparse_direction_T3_S2_llNS_24const_host_device_scalarIT7_EEPKT2_PKS2_PKT4_PKT5_llS5_PT6_ll16rocsparse_order_21rocsparse_index_base_b,"axG",@progbits,_ZN9rocsparseL29bsrmmnt_small_blockdim_kernelILj64ELj8ELj2EiiaaiiEEv20rocsparse_direction_T3_S2_llNS_24const_host_device_scalarIT7_EEPKT2_PKS2_PKT4_PKT5_llS5_PT6_ll16rocsparse_order_21rocsparse_index_base_b,comdat
	.globl	_ZN9rocsparseL29bsrmmnt_small_blockdim_kernelILj64ELj8ELj2EiiaaiiEEv20rocsparse_direction_T3_S2_llNS_24const_host_device_scalarIT7_EEPKT2_PKS2_PKT4_PKT5_llS5_PT6_ll16rocsparse_order_21rocsparse_index_base_b ; -- Begin function _ZN9rocsparseL29bsrmmnt_small_blockdim_kernelILj64ELj8ELj2EiiaaiiEEv20rocsparse_direction_T3_S2_llNS_24const_host_device_scalarIT7_EEPKT2_PKS2_PKT4_PKT5_llS5_PT6_ll16rocsparse_order_21rocsparse_index_base_b
	.p2align	8
	.type	_ZN9rocsparseL29bsrmmnt_small_blockdim_kernelILj64ELj8ELj2EiiaaiiEEv20rocsparse_direction_T3_S2_llNS_24const_host_device_scalarIT7_EEPKT2_PKS2_PKT4_PKT5_llS5_PT6_ll16rocsparse_order_21rocsparse_index_base_b,@function
_ZN9rocsparseL29bsrmmnt_small_blockdim_kernelILj64ELj8ELj2EiiaaiiEEv20rocsparse_direction_T3_S2_llNS_24const_host_device_scalarIT7_EEPKT2_PKS2_PKT4_PKT5_llS5_PT6_ll16rocsparse_order_21rocsparse_index_base_b: ; @_ZN9rocsparseL29bsrmmnt_small_blockdim_kernelILj64ELj8ELj2EiiaaiiEEv20rocsparse_direction_T3_S2_llNS_24const_host_device_scalarIT7_EEPKT2_PKS2_PKT4_PKT5_llS5_PT6_ll16rocsparse_order_21rocsparse_index_base_b
; %bb.0:
	s_load_dwordx4 s[16:19], s[4:5], 0x78
	s_load_dwordx2 s[8:9], s[4:5], 0x20
	s_mov_b64 s[10:11], -1
                                        ; implicit-def: $sgpr28
	s_waitcnt lgkmcnt(0)
	s_bitcmp1_b32 s18, 0
	s_cselect_b64 s[0:1], -1, 0
	s_xor_b64 s[2:3], s[0:1], -1
	s_and_b64 vcc, exec, s[2:3]
	s_cbranch_vccnz .LBB81_4
; %bb.1:
	s_load_dwordx2 s[0:1], s[4:5], 0x58
	s_andn2_b64 vcc, exec, s[10:11]
	s_cbranch_vccz .LBB81_5
.LBB81_2:
	s_and_b64 vcc, exec, s[2:3]
	s_cbranch_vccz .LBB81_6
.LBB81_3:
	s_waitcnt lgkmcnt(0)
	s_load_dword s29, s[0:1], 0x0
	s_cbranch_execz .LBB81_7
	s_branch .LBB81_8
.LBB81_4:
	s_load_dword s28, s[8:9], 0x0
	s_load_dwordx2 s[0:1], s[4:5], 0x58
	s_cbranch_execnz .LBB81_2
.LBB81_5:
	s_waitcnt lgkmcnt(0)
	s_mov_b32 s28, s8
	s_and_b64 vcc, exec, s[2:3]
	s_cbranch_vccnz .LBB81_3
.LBB81_6:
                                        ; implicit-def: $sgpr29
.LBB81_7:
	s_waitcnt lgkmcnt(0)
	s_mov_b32 s29, s0
.LBB81_8:
	s_waitcnt lgkmcnt(0)
	s_cmp_eq_u32 s28, 0
	s_cselect_b64 s[0:1], -1, 0
	s_cmp_eq_u32 s29, 1
	s_cselect_b64 s[2:3], -1, 0
	s_and_b64 s[0:1], s[0:1], s[2:3]
	s_and_b64 vcc, exec, s[0:1]
	s_cbranch_vccnz .LBB81_34
; %bb.9:
	s_load_dword s0, s[4:5], 0x94
	s_load_dwordx4 s[20:23], s[4:5], 0x0
	s_waitcnt lgkmcnt(0)
	s_and_b32 s0, s0, 0xffff
	s_mul_i32 s6, s6, s0
	v_add_u32_e32 v1, s6, v0
	v_lshrrev_b32_e32 v2, 4, v1
	v_cmp_gt_i32_e32 vcc, s21, v2
	s_and_saveexec_b64 s[0:1], vcc
	s_cbranch_execz .LBB81_34
; %bb.10:
	s_cmp_lt_i32 s22, 1
	s_cbranch_scc1 .LBB81_34
; %bb.11:
	s_load_dwordx8 s[8:15], s[4:5], 0x28
	v_lshlrev_b32_e32 v2, 2, v2
	v_lshrrev_b32_e32 v4, 3, v1
	v_bfe_u32 v1, v1, 3, 1
	v_and_b32_e32 v6, 7, v0
	s_waitcnt lgkmcnt(0)
	global_load_dwordx2 v[2:3], v2, s[8:9]
	s_load_dwordx4 s[24:27], s[4:5], 0x60
	s_load_dwordx2 s[6:7], s[4:5], 0x48
	v_lshrrev_b32_e32 v0, 3, v0
	s_cmp_eq_u32 s20, 0
	v_lshlrev_b32_e32 v7, 5, v0
	v_lshlrev_b32_e32 v10, 1, v1
	v_mul_u32_u24_e32 v0, 24, v0
	v_or_b32_e32 v5, 2, v1
	s_cselect_b64 vcc, -1, 0
	v_or_b32_e32 v9, 0x100, v0
	v_or_b32_e32 v0, 1, v10
	v_cndmask_b32_e32 v10, v1, v10, vcc
	v_cndmask_b32_e32 v11, v5, v0, vcc
	s_waitcnt lgkmcnt(0)
	v_mad_u64_u32 v[0:1], s[0:1], s26, v4, 0
	v_lshlrev_b32_e32 v13, 2, v4
	v_mov_b32_e32 v14, s25
	v_add_co_u32_e32 v13, vcc, s24, v13
	s_cmp_lg_u32 s29, 0
	v_addc_co_u32_e32 v14, vcc, 0, v14, vcc
	v_mul_u32_u24_e32 v12, 3, v6
	s_cselect_b64 s[4:5], -1, 0
	s_cmp_lg_u32 s16, 1
	v_mov_b32_e32 v16, s25
	s_mov_b32 s23, 0
	s_mov_b32 s30, 0xc0c0400
	;; [unrolled: 1-line block ×3, first 2 shown]
	v_lshl_or_b32 v8, v6, 2, v7
	s_cselect_b64 s[8:9], -1, 0
	v_add_u32_e32 v12, v9, v12
	s_mov_b32 s16, 0xc0c0100
	s_waitcnt vmcnt(0)
	v_mad_u64_u32 v[4:5], s[0:1], s27, v4, v[1:2]
	v_subrev_u32_e32 v17, s17, v2
	v_subrev_u32_e32 v18, s17, v3
	v_mov_b32_e32 v1, v4
	v_lshlrev_b64 v[0:1], 2, v[0:1]
	v_cmp_lt_i32_e64 s[0:1], v2, v3
	v_add_co_u32_e32 v15, vcc, s24, v0
	v_addc_co_u32_e32 v16, vcc, v16, v1, vcc
	s_branch .LBB81_13
.LBB81_12:                              ;   in Loop: Header=BB81_13 Depth=1
	s_or_b64 exec, exec, s[2:3]
	s_add_i32 s23, s23, 8
	s_cmp_lt_i32 s23, s22
	s_cbranch_scc0 .LBB81_34
.LBB81_13:                              ; =>This Loop Header: Depth=1
                                        ;     Child Loop BB81_16 Depth 2
                                        ;       Child Loop BB81_20 Depth 3
	v_or_b32_e32 v0, s23, v6
	v_ashrrev_i32_e32 v1, 31, v0
	v_mov_b32_e32 v19, 0
	s_and_saveexec_b64 s[18:19], s[0:1]
	s_cbranch_execz .LBB81_22
; %bb.14:                               ;   in Loop: Header=BB81_13 Depth=1
	v_mov_b32_e32 v3, s15
	v_add_co_u32_e64 v2, s[2:3], s14, v0
	v_cmp_gt_i32_e32 vcc, s22, v0
	v_addc_co_u32_e64 v3, s[2:3], v3, v1, s[2:3]
	v_mov_b32_e32 v19, 0
	s_mov_b64 s[20:21], 0
	v_mov_b32_e32 v20, v17
	s_branch .LBB81_16
.LBB81_15:                              ;   in Loop: Header=BB81_16 Depth=2
	s_or_b64 exec, exec, s[2:3]
	v_add_u32_e32 v20, 8, v20
	v_cmp_ge_i32_e64 s[2:3], v20, v18
	s_or_b64 s[20:21], s[2:3], s[20:21]
	s_andn2_b64 exec, exec, s[20:21]
	s_cbranch_execz .LBB81_21
.LBB81_16:                              ;   Parent Loop BB81_13 Depth=1
                                        ; =>  This Loop Header: Depth=2
                                        ;       Child Loop BB81_20 Depth 3
	v_add_u32_e32 v4, v20, v6
	v_cmp_lt_i32_e64 s[2:3], v4, v18
	v_mov_b32_e32 v22, 0
	v_mov_b32_e32 v5, 0
	;; [unrolled: 1-line block ×3, first 2 shown]
	s_and_saveexec_b64 s[24:25], s[2:3]
	s_cbranch_execz .LBB81_18
; %bb.17:                               ;   in Loop: Header=BB81_16 Depth=2
	v_ashrrev_i32_e32 v5, 31, v4
	v_lshlrev_b64 v[21:22], 2, v[4:5]
	v_mov_b32_e32 v5, s11
	v_add_co_u32_e64 v21, s[2:3], s10, v21
	v_addc_co_u32_e64 v22, s[2:3], v5, v22, s[2:3]
	global_load_dword v22, v[21:22], off
	v_lshlrev_b32_e32 v4, 2, v4
	v_or_b32_e32 v23, v4, v10
	v_or_b32_e32 v4, v4, v11
	global_load_ubyte v5, v23, s[12:13]
	global_load_ubyte v21, v4, s[12:13]
	s_waitcnt vmcnt(2)
	v_subrev_u32_e32 v4, s17, v22
	v_lshlrev_b32_e32 v22, 1, v4
.LBB81_18:                              ;   in Loop: Header=BB81_16 Depth=2
	s_or_b64 exec, exec, s[24:25]
	ds_write_b32 v8, v22
	s_waitcnt vmcnt(1)
	ds_write_b8 v12, v5
	s_waitcnt vmcnt(0)
	ds_write_b8 v12, v21 offset:1
	s_waitcnt lgkmcnt(0)
	; wave barrier
	s_and_saveexec_b64 s[2:3], vcc
	s_cbranch_execz .LBB81_15
; %bb.19:                               ;   in Loop: Header=BB81_16 Depth=2
	s_mov_b32 s24, 0
	v_mov_b32_e32 v4, v9
.LBB81_20:                              ;   Parent Loop BB81_13 Depth=1
                                        ;     Parent Loop BB81_16 Depth=2
                                        ; =>    This Inner Loop Header: Depth=3
	v_add_u32_e32 v5, s24, v7
	ds_read_b64 v[21:22], v5
	s_add_i32 s24, s24, 8
	s_cmp_lg_u32 s24, 32
	s_waitcnt lgkmcnt(0)
	v_ashrrev_i32_e32 v5, 31, v21
	v_mul_lo_u32 v5, s6, v5
	v_mul_lo_u32 v25, s7, v21
	v_mad_u64_u32 v[23:24], s[34:35], s6, v21, v[2:3]
	v_add_u32_e32 v21, 1, v21
	v_mul_lo_u32 v26, s7, v21
	v_add3_u32 v24, v25, v24, v5
	global_load_sbyte v5, v[23:24], off
	v_ashrrev_i32_e32 v23, 31, v21
	v_mul_lo_u32 v25, s6, v23
	v_mad_u64_u32 v[23:24], s[34:35], s6, v21, v[2:3]
	v_ashrrev_i32_e32 v21, 31, v22
	v_mul_lo_u32 v21, s6, v21
	v_add3_u32 v24, v26, v24, v25
	global_load_sbyte v25, v[23:24], off
	v_mul_lo_u32 v26, s7, v22
	v_mad_u64_u32 v[23:24], s[34:35], s6, v22, v[2:3]
	v_add3_u32 v24, v26, v24, v21
	v_add_u32_e32 v21, 1, v22
	v_ashrrev_i32_e32 v22, 31, v21
	global_load_sbyte v23, v[23:24], off
	v_mul_lo_u32 v24, s6, v22
	v_mul_lo_u32 v26, s7, v21
	v_mad_u64_u32 v[21:22], s[34:35], s6, v21, v[2:3]
	v_add3_u32 v22, v26, v22, v24
	global_load_sbyte v21, v[21:22], off
	ds_read_u16 v22, v4
	ds_read_i8 v24, v4 offset:3
	ds_read_i8 v26, v4 offset:4
	v_add_u32_e32 v4, 6, v4
	s_waitcnt vmcnt(2)
	v_perm_b32 v5, v25, v5, s30
	s_waitcnt vmcnt(0)
	v_perm_b32 v21, v21, v23, s31
	v_or_b32_e32 v5, v21, v5
	s_waitcnt lgkmcnt(2)
	v_perm_b32 v21, v22, v22, s16
	s_waitcnt lgkmcnt(0)
	v_perm_b32 v22, v26, v24, s31
	v_or_b32_e32 v21, v22, v21
	v_dot4_i32_i8 v19, v21, v5, v19
	s_cbranch_scc1 .LBB81_20
	s_branch .LBB81_15
.LBB81_21:                              ;   in Loop: Header=BB81_13 Depth=1
	s_or_b64 exec, exec, s[20:21]
.LBB81_22:                              ;   in Loop: Header=BB81_13 Depth=1
	s_or_b64 exec, exec, s[18:19]
	v_cmp_gt_i32_e32 vcc, s22, v0
	s_and_saveexec_b64 s[2:3], vcc
	s_cbranch_execz .LBB81_12
; %bb.23:                               ;   in Loop: Header=BB81_13 Depth=1
	s_mov_b64 s[18:19], -1
	s_and_b64 vcc, exec, s[4:5]
	s_cbranch_vccz .LBB81_29
; %bb.24:                               ;   in Loop: Header=BB81_13 Depth=1
	s_and_b64 vcc, exec, s[8:9]
	s_cbranch_vccz .LBB81_26
; %bb.25:                               ;   in Loop: Header=BB81_13 Depth=1
	v_lshlrev_b64 v[2:3], 2, v[0:1]
	v_mul_lo_u32 v4, v19, s28
	v_add_co_u32_e32 v2, vcc, v15, v2
	v_addc_co_u32_e32 v3, vcc, v16, v3, vcc
	global_load_dword v5, v[2:3], off
	s_waitcnt vmcnt(0)
	v_mad_u64_u32 v[4:5], s[18:19], v5, s29, v[4:5]
	s_mov_b64 s[18:19], 0
	global_store_dword v[2:3], v4, off
.LBB81_26:                              ;   in Loop: Header=BB81_13 Depth=1
	s_andn2_b64 vcc, exec, s[18:19]
	s_cbranch_vccnz .LBB81_28
; %bb.27:                               ;   in Loop: Header=BB81_13 Depth=1
	v_mul_lo_u32 v4, s27, v0
	v_mul_lo_u32 v5, s26, v1
	v_mad_u64_u32 v[2:3], s[18:19], s26, v0, 0
	v_add3_u32 v3, v3, v5, v4
	v_lshlrev_b64 v[2:3], 2, v[2:3]
	v_mul_lo_u32 v4, v19, s28
	v_add_co_u32_e32 v2, vcc, v13, v2
	v_addc_co_u32_e32 v3, vcc, v14, v3, vcc
	global_load_dword v5, v[2:3], off
	s_waitcnt vmcnt(0)
	v_mad_u64_u32 v[4:5], s[18:19], v5, s29, v[4:5]
	global_store_dword v[2:3], v4, off
.LBB81_28:                              ;   in Loop: Header=BB81_13 Depth=1
	s_mov_b64 s[18:19], 0
.LBB81_29:                              ;   in Loop: Header=BB81_13 Depth=1
	s_andn2_b64 vcc, exec, s[18:19]
	s_cbranch_vccnz .LBB81_12
; %bb.30:                               ;   in Loop: Header=BB81_13 Depth=1
	v_mul_lo_u32 v2, v19, s28
	s_mov_b64 s[18:19], -1
	s_and_b64 vcc, exec, s[8:9]
	s_cbranch_vccz .LBB81_32
; %bb.31:                               ;   in Loop: Header=BB81_13 Depth=1
	v_lshlrev_b64 v[3:4], 2, v[0:1]
	s_mov_b64 s[18:19], 0
	v_add_co_u32_e32 v3, vcc, v15, v3
	v_addc_co_u32_e32 v4, vcc, v16, v4, vcc
	global_store_dword v[3:4], v2, off
.LBB81_32:                              ;   in Loop: Header=BB81_13 Depth=1
	s_andn2_b64 vcc, exec, s[18:19]
	s_cbranch_vccnz .LBB81_12
; %bb.33:                               ;   in Loop: Header=BB81_13 Depth=1
	v_mul_lo_u32 v3, s27, v0
	v_mul_lo_u32 v4, s26, v1
	v_mad_u64_u32 v[0:1], s[18:19], s26, v0, 0
	v_add3_u32 v1, v1, v4, v3
	v_lshlrev_b64 v[0:1], 2, v[0:1]
	v_add_co_u32_e32 v0, vcc, v13, v0
	v_addc_co_u32_e32 v1, vcc, v14, v1, vcc
	global_store_dword v[0:1], v2, off
	s_branch .LBB81_12
.LBB81_34:
	s_endpgm
	.section	.rodata,"a",@progbits
	.p2align	6, 0x0
	.amdhsa_kernel _ZN9rocsparseL29bsrmmnt_small_blockdim_kernelILj64ELj8ELj2EiiaaiiEEv20rocsparse_direction_T3_S2_llNS_24const_host_device_scalarIT7_EEPKT2_PKS2_PKT4_PKT5_llS5_PT6_ll16rocsparse_order_21rocsparse_index_base_b
		.amdhsa_group_segment_fixed_size 448
		.amdhsa_private_segment_fixed_size 0
		.amdhsa_kernarg_size 392
		.amdhsa_user_sgpr_count 6
		.amdhsa_user_sgpr_private_segment_buffer 1
		.amdhsa_user_sgpr_dispatch_ptr 0
		.amdhsa_user_sgpr_queue_ptr 0
		.amdhsa_user_sgpr_kernarg_segment_ptr 1
		.amdhsa_user_sgpr_dispatch_id 0
		.amdhsa_user_sgpr_flat_scratch_init 0
		.amdhsa_user_sgpr_private_segment_size 0
		.amdhsa_uses_dynamic_stack 0
		.amdhsa_system_sgpr_private_segment_wavefront_offset 0
		.amdhsa_system_sgpr_workgroup_id_x 1
		.amdhsa_system_sgpr_workgroup_id_y 0
		.amdhsa_system_sgpr_workgroup_id_z 0
		.amdhsa_system_sgpr_workgroup_info 0
		.amdhsa_system_vgpr_workitem_id 0
		.amdhsa_next_free_vgpr 27
		.amdhsa_next_free_sgpr 36
		.amdhsa_reserve_vcc 1
		.amdhsa_reserve_flat_scratch 0
		.amdhsa_float_round_mode_32 0
		.amdhsa_float_round_mode_16_64 0
		.amdhsa_float_denorm_mode_32 3
		.amdhsa_float_denorm_mode_16_64 3
		.amdhsa_dx10_clamp 1
		.amdhsa_ieee_mode 1
		.amdhsa_fp16_overflow 0
		.amdhsa_exception_fp_ieee_invalid_op 0
		.amdhsa_exception_fp_denorm_src 0
		.amdhsa_exception_fp_ieee_div_zero 0
		.amdhsa_exception_fp_ieee_overflow 0
		.amdhsa_exception_fp_ieee_underflow 0
		.amdhsa_exception_fp_ieee_inexact 0
		.amdhsa_exception_int_div_zero 0
	.end_amdhsa_kernel
	.section	.text._ZN9rocsparseL29bsrmmnt_small_blockdim_kernelILj64ELj8ELj2EiiaaiiEEv20rocsparse_direction_T3_S2_llNS_24const_host_device_scalarIT7_EEPKT2_PKS2_PKT4_PKT5_llS5_PT6_ll16rocsparse_order_21rocsparse_index_base_b,"axG",@progbits,_ZN9rocsparseL29bsrmmnt_small_blockdim_kernelILj64ELj8ELj2EiiaaiiEEv20rocsparse_direction_T3_S2_llNS_24const_host_device_scalarIT7_EEPKT2_PKS2_PKT4_PKT5_llS5_PT6_ll16rocsparse_order_21rocsparse_index_base_b,comdat
.Lfunc_end81:
	.size	_ZN9rocsparseL29bsrmmnt_small_blockdim_kernelILj64ELj8ELj2EiiaaiiEEv20rocsparse_direction_T3_S2_llNS_24const_host_device_scalarIT7_EEPKT2_PKS2_PKT4_PKT5_llS5_PT6_ll16rocsparse_order_21rocsparse_index_base_b, .Lfunc_end81-_ZN9rocsparseL29bsrmmnt_small_blockdim_kernelILj64ELj8ELj2EiiaaiiEEv20rocsparse_direction_T3_S2_llNS_24const_host_device_scalarIT7_EEPKT2_PKS2_PKT4_PKT5_llS5_PT6_ll16rocsparse_order_21rocsparse_index_base_b
                                        ; -- End function
	.set _ZN9rocsparseL29bsrmmnt_small_blockdim_kernelILj64ELj8ELj2EiiaaiiEEv20rocsparse_direction_T3_S2_llNS_24const_host_device_scalarIT7_EEPKT2_PKS2_PKT4_PKT5_llS5_PT6_ll16rocsparse_order_21rocsparse_index_base_b.num_vgpr, 27
	.set _ZN9rocsparseL29bsrmmnt_small_blockdim_kernelILj64ELj8ELj2EiiaaiiEEv20rocsparse_direction_T3_S2_llNS_24const_host_device_scalarIT7_EEPKT2_PKS2_PKT4_PKT5_llS5_PT6_ll16rocsparse_order_21rocsparse_index_base_b.num_agpr, 0
	.set _ZN9rocsparseL29bsrmmnt_small_blockdim_kernelILj64ELj8ELj2EiiaaiiEEv20rocsparse_direction_T3_S2_llNS_24const_host_device_scalarIT7_EEPKT2_PKS2_PKT4_PKT5_llS5_PT6_ll16rocsparse_order_21rocsparse_index_base_b.numbered_sgpr, 36
	.set _ZN9rocsparseL29bsrmmnt_small_blockdim_kernelILj64ELj8ELj2EiiaaiiEEv20rocsparse_direction_T3_S2_llNS_24const_host_device_scalarIT7_EEPKT2_PKS2_PKT4_PKT5_llS5_PT6_ll16rocsparse_order_21rocsparse_index_base_b.num_named_barrier, 0
	.set _ZN9rocsparseL29bsrmmnt_small_blockdim_kernelILj64ELj8ELj2EiiaaiiEEv20rocsparse_direction_T3_S2_llNS_24const_host_device_scalarIT7_EEPKT2_PKS2_PKT4_PKT5_llS5_PT6_ll16rocsparse_order_21rocsparse_index_base_b.private_seg_size, 0
	.set _ZN9rocsparseL29bsrmmnt_small_blockdim_kernelILj64ELj8ELj2EiiaaiiEEv20rocsparse_direction_T3_S2_llNS_24const_host_device_scalarIT7_EEPKT2_PKS2_PKT4_PKT5_llS5_PT6_ll16rocsparse_order_21rocsparse_index_base_b.uses_vcc, 1
	.set _ZN9rocsparseL29bsrmmnt_small_blockdim_kernelILj64ELj8ELj2EiiaaiiEEv20rocsparse_direction_T3_S2_llNS_24const_host_device_scalarIT7_EEPKT2_PKS2_PKT4_PKT5_llS5_PT6_ll16rocsparse_order_21rocsparse_index_base_b.uses_flat_scratch, 0
	.set _ZN9rocsparseL29bsrmmnt_small_blockdim_kernelILj64ELj8ELj2EiiaaiiEEv20rocsparse_direction_T3_S2_llNS_24const_host_device_scalarIT7_EEPKT2_PKS2_PKT4_PKT5_llS5_PT6_ll16rocsparse_order_21rocsparse_index_base_b.has_dyn_sized_stack, 0
	.set _ZN9rocsparseL29bsrmmnt_small_blockdim_kernelILj64ELj8ELj2EiiaaiiEEv20rocsparse_direction_T3_S2_llNS_24const_host_device_scalarIT7_EEPKT2_PKS2_PKT4_PKT5_llS5_PT6_ll16rocsparse_order_21rocsparse_index_base_b.has_recursion, 0
	.set _ZN9rocsparseL29bsrmmnt_small_blockdim_kernelILj64ELj8ELj2EiiaaiiEEv20rocsparse_direction_T3_S2_llNS_24const_host_device_scalarIT7_EEPKT2_PKS2_PKT4_PKT5_llS5_PT6_ll16rocsparse_order_21rocsparse_index_base_b.has_indirect_call, 0
	.section	.AMDGPU.csdata,"",@progbits
; Kernel info:
; codeLenInByte = 1372
; TotalNumSgprs: 40
; NumVgprs: 27
; ScratchSize: 0
; MemoryBound: 0
; FloatMode: 240
; IeeeMode: 1
; LDSByteSize: 448 bytes/workgroup (compile time only)
; SGPRBlocks: 4
; VGPRBlocks: 6
; NumSGPRsForWavesPerEU: 40
; NumVGPRsForWavesPerEU: 27
; Occupancy: 9
; WaveLimiterHint : 0
; COMPUTE_PGM_RSRC2:SCRATCH_EN: 0
; COMPUTE_PGM_RSRC2:USER_SGPR: 6
; COMPUTE_PGM_RSRC2:TRAP_HANDLER: 0
; COMPUTE_PGM_RSRC2:TGID_X_EN: 1
; COMPUTE_PGM_RSRC2:TGID_Y_EN: 0
; COMPUTE_PGM_RSRC2:TGID_Z_EN: 0
; COMPUTE_PGM_RSRC2:TIDIG_COMP_CNT: 0
	.section	.text._ZN9rocsparseL29bsrmmnt_small_blockdim_kernelILj64ELj16ELj2EiiaaiiEEv20rocsparse_direction_T3_S2_llNS_24const_host_device_scalarIT7_EEPKT2_PKS2_PKT4_PKT5_llS5_PT6_ll16rocsparse_order_21rocsparse_index_base_b,"axG",@progbits,_ZN9rocsparseL29bsrmmnt_small_blockdim_kernelILj64ELj16ELj2EiiaaiiEEv20rocsparse_direction_T3_S2_llNS_24const_host_device_scalarIT7_EEPKT2_PKS2_PKT4_PKT5_llS5_PT6_ll16rocsparse_order_21rocsparse_index_base_b,comdat
	.globl	_ZN9rocsparseL29bsrmmnt_small_blockdim_kernelILj64ELj16ELj2EiiaaiiEEv20rocsparse_direction_T3_S2_llNS_24const_host_device_scalarIT7_EEPKT2_PKS2_PKT4_PKT5_llS5_PT6_ll16rocsparse_order_21rocsparse_index_base_b ; -- Begin function _ZN9rocsparseL29bsrmmnt_small_blockdim_kernelILj64ELj16ELj2EiiaaiiEEv20rocsparse_direction_T3_S2_llNS_24const_host_device_scalarIT7_EEPKT2_PKS2_PKT4_PKT5_llS5_PT6_ll16rocsparse_order_21rocsparse_index_base_b
	.p2align	8
	.type	_ZN9rocsparseL29bsrmmnt_small_blockdim_kernelILj64ELj16ELj2EiiaaiiEEv20rocsparse_direction_T3_S2_llNS_24const_host_device_scalarIT7_EEPKT2_PKS2_PKT4_PKT5_llS5_PT6_ll16rocsparse_order_21rocsparse_index_base_b,@function
_ZN9rocsparseL29bsrmmnt_small_blockdim_kernelILj64ELj16ELj2EiiaaiiEEv20rocsparse_direction_T3_S2_llNS_24const_host_device_scalarIT7_EEPKT2_PKS2_PKT4_PKT5_llS5_PT6_ll16rocsparse_order_21rocsparse_index_base_b: ; @_ZN9rocsparseL29bsrmmnt_small_blockdim_kernelILj64ELj16ELj2EiiaaiiEEv20rocsparse_direction_T3_S2_llNS_24const_host_device_scalarIT7_EEPKT2_PKS2_PKT4_PKT5_llS5_PT6_ll16rocsparse_order_21rocsparse_index_base_b
; %bb.0:
	s_load_dwordx4 s[16:19], s[4:5], 0x78
	s_load_dwordx2 s[8:9], s[4:5], 0x20
	s_mov_b64 s[10:11], -1
                                        ; implicit-def: $sgpr28
	s_waitcnt lgkmcnt(0)
	s_bitcmp1_b32 s18, 0
	s_cselect_b64 s[0:1], -1, 0
	s_xor_b64 s[2:3], s[0:1], -1
	s_and_b64 vcc, exec, s[2:3]
	s_cbranch_vccnz .LBB82_4
; %bb.1:
	s_load_dwordx2 s[0:1], s[4:5], 0x58
	s_andn2_b64 vcc, exec, s[10:11]
	s_cbranch_vccz .LBB82_5
.LBB82_2:
	s_and_b64 vcc, exec, s[2:3]
	s_cbranch_vccz .LBB82_6
.LBB82_3:
	s_waitcnt lgkmcnt(0)
	s_load_dword s29, s[0:1], 0x0
	s_cbranch_execz .LBB82_7
	s_branch .LBB82_8
.LBB82_4:
	s_load_dword s28, s[8:9], 0x0
	s_load_dwordx2 s[0:1], s[4:5], 0x58
	s_cbranch_execnz .LBB82_2
.LBB82_5:
	s_waitcnt lgkmcnt(0)
	s_mov_b32 s28, s8
	s_and_b64 vcc, exec, s[2:3]
	s_cbranch_vccnz .LBB82_3
.LBB82_6:
                                        ; implicit-def: $sgpr29
.LBB82_7:
	s_waitcnt lgkmcnt(0)
	s_mov_b32 s29, s0
.LBB82_8:
	s_waitcnt lgkmcnt(0)
	s_cmp_eq_u32 s28, 0
	s_cselect_b64 s[0:1], -1, 0
	s_cmp_eq_u32 s29, 1
	s_cselect_b64 s[2:3], -1, 0
	s_and_b64 s[0:1], s[0:1], s[2:3]
	s_and_b64 vcc, exec, s[0:1]
	s_cbranch_vccnz .LBB82_34
; %bb.9:
	s_load_dword s0, s[4:5], 0x94
	s_load_dwordx4 s[20:23], s[4:5], 0x0
	s_waitcnt lgkmcnt(0)
	s_and_b32 s0, s0, 0xffff
	s_mul_i32 s6, s6, s0
	v_add_u32_e32 v1, s6, v0
	v_lshrrev_b32_e32 v2, 5, v1
	v_cmp_gt_i32_e32 vcc, s21, v2
	s_and_saveexec_b64 s[0:1], vcc
	s_cbranch_execz .LBB82_34
; %bb.10:
	s_cmp_lt_i32 s22, 1
	s_cbranch_scc1 .LBB82_34
; %bb.11:
	s_load_dwordx8 s[8:15], s[4:5], 0x28
	v_lshlrev_b32_e32 v2, 2, v2
	v_lshrrev_b32_e32 v4, 4, v1
	v_bfe_u32 v1, v1, 4, 1
	v_and_b32_e32 v6, 15, v0
	s_waitcnt lgkmcnt(0)
	global_load_dwordx2 v[2:3], v2, s[8:9]
	s_load_dwordx4 s[24:27], s[4:5], 0x60
	s_load_dwordx2 s[6:7], s[4:5], 0x48
	v_lshrrev_b32_e32 v0, 4, v0
	s_cmp_eq_u32 s20, 0
	v_lshlrev_b32_e32 v7, 6, v0
	v_lshlrev_b32_e32 v10, 1, v1
	v_mul_u32_u24_e32 v0, 48, v0
	v_or_b32_e32 v5, 2, v1
	s_cselect_b64 vcc, -1, 0
	v_or_b32_e32 v9, 0x100, v0
	v_or_b32_e32 v0, 1, v10
	v_cndmask_b32_e32 v10, v1, v10, vcc
	v_cndmask_b32_e32 v11, v5, v0, vcc
	s_waitcnt lgkmcnt(0)
	v_mad_u64_u32 v[0:1], s[0:1], s26, v4, 0
	v_lshlrev_b32_e32 v13, 2, v4
	v_mov_b32_e32 v14, s25
	v_add_co_u32_e32 v13, vcc, s24, v13
	s_cmp_lg_u32 s29, 0
	v_addc_co_u32_e32 v14, vcc, 0, v14, vcc
	v_mul_u32_u24_e32 v12, 3, v6
	s_cselect_b64 s[4:5], -1, 0
	s_cmp_lg_u32 s16, 1
	v_mov_b32_e32 v16, s25
	s_mov_b32 s23, 0
	s_mov_b32 s30, 0xc0c0400
	;; [unrolled: 1-line block ×3, first 2 shown]
	v_lshl_or_b32 v8, v6, 2, v7
	s_cselect_b64 s[8:9], -1, 0
	v_add_u32_e32 v12, v9, v12
	s_mov_b32 s16, 0xc0c0100
	s_waitcnt vmcnt(0)
	v_mad_u64_u32 v[4:5], s[0:1], s27, v4, v[1:2]
	v_subrev_u32_e32 v17, s17, v2
	v_subrev_u32_e32 v18, s17, v3
	v_mov_b32_e32 v1, v4
	v_lshlrev_b64 v[0:1], 2, v[0:1]
	v_cmp_lt_i32_e64 s[0:1], v2, v3
	v_add_co_u32_e32 v15, vcc, s24, v0
	v_addc_co_u32_e32 v16, vcc, v16, v1, vcc
	s_branch .LBB82_13
.LBB82_12:                              ;   in Loop: Header=BB82_13 Depth=1
	s_or_b64 exec, exec, s[2:3]
	s_add_i32 s23, s23, 16
	s_cmp_lt_i32 s23, s22
	s_cbranch_scc0 .LBB82_34
.LBB82_13:                              ; =>This Loop Header: Depth=1
                                        ;     Child Loop BB82_16 Depth 2
                                        ;       Child Loop BB82_20 Depth 3
	v_or_b32_e32 v0, s23, v6
	v_ashrrev_i32_e32 v1, 31, v0
	v_mov_b32_e32 v19, 0
	s_and_saveexec_b64 s[18:19], s[0:1]
	s_cbranch_execz .LBB82_22
; %bb.14:                               ;   in Loop: Header=BB82_13 Depth=1
	v_mov_b32_e32 v3, s15
	v_add_co_u32_e64 v2, s[2:3], s14, v0
	v_cmp_gt_i32_e32 vcc, s22, v0
	v_addc_co_u32_e64 v3, s[2:3], v3, v1, s[2:3]
	v_mov_b32_e32 v19, 0
	s_mov_b64 s[20:21], 0
	v_mov_b32_e32 v20, v17
	s_branch .LBB82_16
.LBB82_15:                              ;   in Loop: Header=BB82_16 Depth=2
	s_or_b64 exec, exec, s[2:3]
	v_add_u32_e32 v20, 16, v20
	v_cmp_ge_i32_e64 s[2:3], v20, v18
	s_or_b64 s[20:21], s[2:3], s[20:21]
	s_andn2_b64 exec, exec, s[20:21]
	s_cbranch_execz .LBB82_21
.LBB82_16:                              ;   Parent Loop BB82_13 Depth=1
                                        ; =>  This Loop Header: Depth=2
                                        ;       Child Loop BB82_20 Depth 3
	v_add_u32_e32 v4, v20, v6
	v_cmp_lt_i32_e64 s[2:3], v4, v18
	v_mov_b32_e32 v22, 0
	v_mov_b32_e32 v5, 0
	v_mov_b32_e32 v21, 0
	s_and_saveexec_b64 s[24:25], s[2:3]
	s_cbranch_execz .LBB82_18
; %bb.17:                               ;   in Loop: Header=BB82_16 Depth=2
	v_ashrrev_i32_e32 v5, 31, v4
	v_lshlrev_b64 v[21:22], 2, v[4:5]
	v_mov_b32_e32 v5, s11
	v_add_co_u32_e64 v21, s[2:3], s10, v21
	v_addc_co_u32_e64 v22, s[2:3], v5, v22, s[2:3]
	global_load_dword v22, v[21:22], off
	v_lshlrev_b32_e32 v4, 2, v4
	v_or_b32_e32 v23, v4, v10
	v_or_b32_e32 v4, v4, v11
	global_load_ubyte v5, v23, s[12:13]
	global_load_ubyte v21, v4, s[12:13]
	s_waitcnt vmcnt(2)
	v_subrev_u32_e32 v4, s17, v22
	v_lshlrev_b32_e32 v22, 1, v4
.LBB82_18:                              ;   in Loop: Header=BB82_16 Depth=2
	s_or_b64 exec, exec, s[24:25]
	ds_write_b32 v8, v22
	s_waitcnt vmcnt(1)
	ds_write_b8 v12, v5
	s_waitcnt vmcnt(0)
	ds_write_b8 v12, v21 offset:1
	s_waitcnt lgkmcnt(0)
	; wave barrier
	s_and_saveexec_b64 s[2:3], vcc
	s_cbranch_execz .LBB82_15
; %bb.19:                               ;   in Loop: Header=BB82_16 Depth=2
	s_mov_b32 s24, 0
	v_mov_b32_e32 v4, v9
.LBB82_20:                              ;   Parent Loop BB82_13 Depth=1
                                        ;     Parent Loop BB82_16 Depth=2
                                        ; =>    This Inner Loop Header: Depth=3
	v_add_u32_e32 v5, s24, v7
	ds_read_b64 v[21:22], v5
	s_add_i32 s24, s24, 8
	s_cmp_lg_u32 s24, 64
	s_waitcnt lgkmcnt(0)
	v_ashrrev_i32_e32 v5, 31, v21
	v_mul_lo_u32 v5, s6, v5
	v_mul_lo_u32 v25, s7, v21
	v_mad_u64_u32 v[23:24], s[34:35], s6, v21, v[2:3]
	v_add_u32_e32 v21, 1, v21
	v_mul_lo_u32 v26, s7, v21
	v_add3_u32 v24, v25, v24, v5
	global_load_sbyte v5, v[23:24], off
	v_ashrrev_i32_e32 v23, 31, v21
	v_mul_lo_u32 v25, s6, v23
	v_mad_u64_u32 v[23:24], s[34:35], s6, v21, v[2:3]
	v_ashrrev_i32_e32 v21, 31, v22
	v_mul_lo_u32 v21, s6, v21
	v_add3_u32 v24, v26, v24, v25
	global_load_sbyte v25, v[23:24], off
	v_mul_lo_u32 v26, s7, v22
	v_mad_u64_u32 v[23:24], s[34:35], s6, v22, v[2:3]
	v_add3_u32 v24, v26, v24, v21
	v_add_u32_e32 v21, 1, v22
	v_ashrrev_i32_e32 v22, 31, v21
	global_load_sbyte v23, v[23:24], off
	v_mul_lo_u32 v24, s6, v22
	v_mul_lo_u32 v26, s7, v21
	v_mad_u64_u32 v[21:22], s[34:35], s6, v21, v[2:3]
	v_add3_u32 v22, v26, v22, v24
	global_load_sbyte v21, v[21:22], off
	ds_read_u16 v22, v4
	ds_read_i8 v24, v4 offset:3
	ds_read_i8 v26, v4 offset:4
	v_add_u32_e32 v4, 6, v4
	s_waitcnt vmcnt(2)
	v_perm_b32 v5, v25, v5, s30
	s_waitcnt vmcnt(0)
	v_perm_b32 v21, v21, v23, s31
	v_or_b32_e32 v5, v21, v5
	s_waitcnt lgkmcnt(2)
	v_perm_b32 v21, v22, v22, s16
	s_waitcnt lgkmcnt(0)
	v_perm_b32 v22, v26, v24, s31
	v_or_b32_e32 v21, v22, v21
	v_dot4_i32_i8 v19, v21, v5, v19
	s_cbranch_scc1 .LBB82_20
	s_branch .LBB82_15
.LBB82_21:                              ;   in Loop: Header=BB82_13 Depth=1
	s_or_b64 exec, exec, s[20:21]
.LBB82_22:                              ;   in Loop: Header=BB82_13 Depth=1
	s_or_b64 exec, exec, s[18:19]
	v_cmp_gt_i32_e32 vcc, s22, v0
	s_and_saveexec_b64 s[2:3], vcc
	s_cbranch_execz .LBB82_12
; %bb.23:                               ;   in Loop: Header=BB82_13 Depth=1
	s_mov_b64 s[18:19], -1
	s_and_b64 vcc, exec, s[4:5]
	s_cbranch_vccz .LBB82_29
; %bb.24:                               ;   in Loop: Header=BB82_13 Depth=1
	s_and_b64 vcc, exec, s[8:9]
	s_cbranch_vccz .LBB82_26
; %bb.25:                               ;   in Loop: Header=BB82_13 Depth=1
	v_lshlrev_b64 v[2:3], 2, v[0:1]
	v_mul_lo_u32 v4, v19, s28
	v_add_co_u32_e32 v2, vcc, v15, v2
	v_addc_co_u32_e32 v3, vcc, v16, v3, vcc
	global_load_dword v5, v[2:3], off
	s_waitcnt vmcnt(0)
	v_mad_u64_u32 v[4:5], s[18:19], v5, s29, v[4:5]
	s_mov_b64 s[18:19], 0
	global_store_dword v[2:3], v4, off
.LBB82_26:                              ;   in Loop: Header=BB82_13 Depth=1
	s_andn2_b64 vcc, exec, s[18:19]
	s_cbranch_vccnz .LBB82_28
; %bb.27:                               ;   in Loop: Header=BB82_13 Depth=1
	v_mul_lo_u32 v4, s27, v0
	v_mul_lo_u32 v5, s26, v1
	v_mad_u64_u32 v[2:3], s[18:19], s26, v0, 0
	v_add3_u32 v3, v3, v5, v4
	v_lshlrev_b64 v[2:3], 2, v[2:3]
	v_mul_lo_u32 v4, v19, s28
	v_add_co_u32_e32 v2, vcc, v13, v2
	v_addc_co_u32_e32 v3, vcc, v14, v3, vcc
	global_load_dword v5, v[2:3], off
	s_waitcnt vmcnt(0)
	v_mad_u64_u32 v[4:5], s[18:19], v5, s29, v[4:5]
	global_store_dword v[2:3], v4, off
.LBB82_28:                              ;   in Loop: Header=BB82_13 Depth=1
	s_mov_b64 s[18:19], 0
.LBB82_29:                              ;   in Loop: Header=BB82_13 Depth=1
	s_andn2_b64 vcc, exec, s[18:19]
	s_cbranch_vccnz .LBB82_12
; %bb.30:                               ;   in Loop: Header=BB82_13 Depth=1
	v_mul_lo_u32 v2, v19, s28
	s_mov_b64 s[18:19], -1
	s_and_b64 vcc, exec, s[8:9]
	s_cbranch_vccz .LBB82_32
; %bb.31:                               ;   in Loop: Header=BB82_13 Depth=1
	v_lshlrev_b64 v[3:4], 2, v[0:1]
	s_mov_b64 s[18:19], 0
	v_add_co_u32_e32 v3, vcc, v15, v3
	v_addc_co_u32_e32 v4, vcc, v16, v4, vcc
	global_store_dword v[3:4], v2, off
.LBB82_32:                              ;   in Loop: Header=BB82_13 Depth=1
	s_andn2_b64 vcc, exec, s[18:19]
	s_cbranch_vccnz .LBB82_12
; %bb.33:                               ;   in Loop: Header=BB82_13 Depth=1
	v_mul_lo_u32 v3, s27, v0
	v_mul_lo_u32 v4, s26, v1
	v_mad_u64_u32 v[0:1], s[18:19], s26, v0, 0
	v_add3_u32 v1, v1, v4, v3
	v_lshlrev_b64 v[0:1], 2, v[0:1]
	v_add_co_u32_e32 v0, vcc, v13, v0
	v_addc_co_u32_e32 v1, vcc, v14, v1, vcc
	global_store_dword v[0:1], v2, off
	s_branch .LBB82_12
.LBB82_34:
	s_endpgm
	.section	.rodata,"a",@progbits
	.p2align	6, 0x0
	.amdhsa_kernel _ZN9rocsparseL29bsrmmnt_small_blockdim_kernelILj64ELj16ELj2EiiaaiiEEv20rocsparse_direction_T3_S2_llNS_24const_host_device_scalarIT7_EEPKT2_PKS2_PKT4_PKT5_llS5_PT6_ll16rocsparse_order_21rocsparse_index_base_b
		.amdhsa_group_segment_fixed_size 448
		.amdhsa_private_segment_fixed_size 0
		.amdhsa_kernarg_size 392
		.amdhsa_user_sgpr_count 6
		.amdhsa_user_sgpr_private_segment_buffer 1
		.amdhsa_user_sgpr_dispatch_ptr 0
		.amdhsa_user_sgpr_queue_ptr 0
		.amdhsa_user_sgpr_kernarg_segment_ptr 1
		.amdhsa_user_sgpr_dispatch_id 0
		.amdhsa_user_sgpr_flat_scratch_init 0
		.amdhsa_user_sgpr_private_segment_size 0
		.amdhsa_uses_dynamic_stack 0
		.amdhsa_system_sgpr_private_segment_wavefront_offset 0
		.amdhsa_system_sgpr_workgroup_id_x 1
		.amdhsa_system_sgpr_workgroup_id_y 0
		.amdhsa_system_sgpr_workgroup_id_z 0
		.amdhsa_system_sgpr_workgroup_info 0
		.amdhsa_system_vgpr_workitem_id 0
		.amdhsa_next_free_vgpr 27
		.amdhsa_next_free_sgpr 36
		.amdhsa_reserve_vcc 1
		.amdhsa_reserve_flat_scratch 0
		.amdhsa_float_round_mode_32 0
		.amdhsa_float_round_mode_16_64 0
		.amdhsa_float_denorm_mode_32 3
		.amdhsa_float_denorm_mode_16_64 3
		.amdhsa_dx10_clamp 1
		.amdhsa_ieee_mode 1
		.amdhsa_fp16_overflow 0
		.amdhsa_exception_fp_ieee_invalid_op 0
		.amdhsa_exception_fp_denorm_src 0
		.amdhsa_exception_fp_ieee_div_zero 0
		.amdhsa_exception_fp_ieee_overflow 0
		.amdhsa_exception_fp_ieee_underflow 0
		.amdhsa_exception_fp_ieee_inexact 0
		.amdhsa_exception_int_div_zero 0
	.end_amdhsa_kernel
	.section	.text._ZN9rocsparseL29bsrmmnt_small_blockdim_kernelILj64ELj16ELj2EiiaaiiEEv20rocsparse_direction_T3_S2_llNS_24const_host_device_scalarIT7_EEPKT2_PKS2_PKT4_PKT5_llS5_PT6_ll16rocsparse_order_21rocsparse_index_base_b,"axG",@progbits,_ZN9rocsparseL29bsrmmnt_small_blockdim_kernelILj64ELj16ELj2EiiaaiiEEv20rocsparse_direction_T3_S2_llNS_24const_host_device_scalarIT7_EEPKT2_PKS2_PKT4_PKT5_llS5_PT6_ll16rocsparse_order_21rocsparse_index_base_b,comdat
.Lfunc_end82:
	.size	_ZN9rocsparseL29bsrmmnt_small_blockdim_kernelILj64ELj16ELj2EiiaaiiEEv20rocsparse_direction_T3_S2_llNS_24const_host_device_scalarIT7_EEPKT2_PKS2_PKT4_PKT5_llS5_PT6_ll16rocsparse_order_21rocsparse_index_base_b, .Lfunc_end82-_ZN9rocsparseL29bsrmmnt_small_blockdim_kernelILj64ELj16ELj2EiiaaiiEEv20rocsparse_direction_T3_S2_llNS_24const_host_device_scalarIT7_EEPKT2_PKS2_PKT4_PKT5_llS5_PT6_ll16rocsparse_order_21rocsparse_index_base_b
                                        ; -- End function
	.set _ZN9rocsparseL29bsrmmnt_small_blockdim_kernelILj64ELj16ELj2EiiaaiiEEv20rocsparse_direction_T3_S2_llNS_24const_host_device_scalarIT7_EEPKT2_PKS2_PKT4_PKT5_llS5_PT6_ll16rocsparse_order_21rocsparse_index_base_b.num_vgpr, 27
	.set _ZN9rocsparseL29bsrmmnt_small_blockdim_kernelILj64ELj16ELj2EiiaaiiEEv20rocsparse_direction_T3_S2_llNS_24const_host_device_scalarIT7_EEPKT2_PKS2_PKT4_PKT5_llS5_PT6_ll16rocsparse_order_21rocsparse_index_base_b.num_agpr, 0
	.set _ZN9rocsparseL29bsrmmnt_small_blockdim_kernelILj64ELj16ELj2EiiaaiiEEv20rocsparse_direction_T3_S2_llNS_24const_host_device_scalarIT7_EEPKT2_PKS2_PKT4_PKT5_llS5_PT6_ll16rocsparse_order_21rocsparse_index_base_b.numbered_sgpr, 36
	.set _ZN9rocsparseL29bsrmmnt_small_blockdim_kernelILj64ELj16ELj2EiiaaiiEEv20rocsparse_direction_T3_S2_llNS_24const_host_device_scalarIT7_EEPKT2_PKS2_PKT4_PKT5_llS5_PT6_ll16rocsparse_order_21rocsparse_index_base_b.num_named_barrier, 0
	.set _ZN9rocsparseL29bsrmmnt_small_blockdim_kernelILj64ELj16ELj2EiiaaiiEEv20rocsparse_direction_T3_S2_llNS_24const_host_device_scalarIT7_EEPKT2_PKS2_PKT4_PKT5_llS5_PT6_ll16rocsparse_order_21rocsparse_index_base_b.private_seg_size, 0
	.set _ZN9rocsparseL29bsrmmnt_small_blockdim_kernelILj64ELj16ELj2EiiaaiiEEv20rocsparse_direction_T3_S2_llNS_24const_host_device_scalarIT7_EEPKT2_PKS2_PKT4_PKT5_llS5_PT6_ll16rocsparse_order_21rocsparse_index_base_b.uses_vcc, 1
	.set _ZN9rocsparseL29bsrmmnt_small_blockdim_kernelILj64ELj16ELj2EiiaaiiEEv20rocsparse_direction_T3_S2_llNS_24const_host_device_scalarIT7_EEPKT2_PKS2_PKT4_PKT5_llS5_PT6_ll16rocsparse_order_21rocsparse_index_base_b.uses_flat_scratch, 0
	.set _ZN9rocsparseL29bsrmmnt_small_blockdim_kernelILj64ELj16ELj2EiiaaiiEEv20rocsparse_direction_T3_S2_llNS_24const_host_device_scalarIT7_EEPKT2_PKS2_PKT4_PKT5_llS5_PT6_ll16rocsparse_order_21rocsparse_index_base_b.has_dyn_sized_stack, 0
	.set _ZN9rocsparseL29bsrmmnt_small_blockdim_kernelILj64ELj16ELj2EiiaaiiEEv20rocsparse_direction_T3_S2_llNS_24const_host_device_scalarIT7_EEPKT2_PKS2_PKT4_PKT5_llS5_PT6_ll16rocsparse_order_21rocsparse_index_base_b.has_recursion, 0
	.set _ZN9rocsparseL29bsrmmnt_small_blockdim_kernelILj64ELj16ELj2EiiaaiiEEv20rocsparse_direction_T3_S2_llNS_24const_host_device_scalarIT7_EEPKT2_PKS2_PKT4_PKT5_llS5_PT6_ll16rocsparse_order_21rocsparse_index_base_b.has_indirect_call, 0
	.section	.AMDGPU.csdata,"",@progbits
; Kernel info:
; codeLenInByte = 1372
; TotalNumSgprs: 40
; NumVgprs: 27
; ScratchSize: 0
; MemoryBound: 0
; FloatMode: 240
; IeeeMode: 1
; LDSByteSize: 448 bytes/workgroup (compile time only)
; SGPRBlocks: 4
; VGPRBlocks: 6
; NumSGPRsForWavesPerEU: 40
; NumVGPRsForWavesPerEU: 27
; Occupancy: 9
; WaveLimiterHint : 0
; COMPUTE_PGM_RSRC2:SCRATCH_EN: 0
; COMPUTE_PGM_RSRC2:USER_SGPR: 6
; COMPUTE_PGM_RSRC2:TRAP_HANDLER: 0
; COMPUTE_PGM_RSRC2:TGID_X_EN: 1
; COMPUTE_PGM_RSRC2:TGID_Y_EN: 0
; COMPUTE_PGM_RSRC2:TGID_Z_EN: 0
; COMPUTE_PGM_RSRC2:TIDIG_COMP_CNT: 0
	.section	.text._ZN9rocsparseL29bsrmmnt_small_blockdim_kernelILj64ELj32ELj2EiiaaiiEEv20rocsparse_direction_T3_S2_llNS_24const_host_device_scalarIT7_EEPKT2_PKS2_PKT4_PKT5_llS5_PT6_ll16rocsparse_order_21rocsparse_index_base_b,"axG",@progbits,_ZN9rocsparseL29bsrmmnt_small_blockdim_kernelILj64ELj32ELj2EiiaaiiEEv20rocsparse_direction_T3_S2_llNS_24const_host_device_scalarIT7_EEPKT2_PKS2_PKT4_PKT5_llS5_PT6_ll16rocsparse_order_21rocsparse_index_base_b,comdat
	.globl	_ZN9rocsparseL29bsrmmnt_small_blockdim_kernelILj64ELj32ELj2EiiaaiiEEv20rocsparse_direction_T3_S2_llNS_24const_host_device_scalarIT7_EEPKT2_PKS2_PKT4_PKT5_llS5_PT6_ll16rocsparse_order_21rocsparse_index_base_b ; -- Begin function _ZN9rocsparseL29bsrmmnt_small_blockdim_kernelILj64ELj32ELj2EiiaaiiEEv20rocsparse_direction_T3_S2_llNS_24const_host_device_scalarIT7_EEPKT2_PKS2_PKT4_PKT5_llS5_PT6_ll16rocsparse_order_21rocsparse_index_base_b
	.p2align	8
	.type	_ZN9rocsparseL29bsrmmnt_small_blockdim_kernelILj64ELj32ELj2EiiaaiiEEv20rocsparse_direction_T3_S2_llNS_24const_host_device_scalarIT7_EEPKT2_PKS2_PKT4_PKT5_llS5_PT6_ll16rocsparse_order_21rocsparse_index_base_b,@function
_ZN9rocsparseL29bsrmmnt_small_blockdim_kernelILj64ELj32ELj2EiiaaiiEEv20rocsparse_direction_T3_S2_llNS_24const_host_device_scalarIT7_EEPKT2_PKS2_PKT4_PKT5_llS5_PT6_ll16rocsparse_order_21rocsparse_index_base_b: ; @_ZN9rocsparseL29bsrmmnt_small_blockdim_kernelILj64ELj32ELj2EiiaaiiEEv20rocsparse_direction_T3_S2_llNS_24const_host_device_scalarIT7_EEPKT2_PKS2_PKT4_PKT5_llS5_PT6_ll16rocsparse_order_21rocsparse_index_base_b
; %bb.0:
	s_load_dwordx4 s[16:19], s[4:5], 0x78
	s_load_dwordx2 s[8:9], s[4:5], 0x20
	s_mov_b64 s[10:11], -1
                                        ; implicit-def: $sgpr28
	s_waitcnt lgkmcnt(0)
	s_bitcmp1_b32 s18, 0
	s_cselect_b64 s[0:1], -1, 0
	s_xor_b64 s[2:3], s[0:1], -1
	s_and_b64 vcc, exec, s[2:3]
	s_cbranch_vccnz .LBB83_4
; %bb.1:
	s_load_dwordx2 s[0:1], s[4:5], 0x58
	s_andn2_b64 vcc, exec, s[10:11]
	s_cbranch_vccz .LBB83_5
.LBB83_2:
	s_and_b64 vcc, exec, s[2:3]
	s_cbranch_vccz .LBB83_6
.LBB83_3:
	s_waitcnt lgkmcnt(0)
	s_load_dword s29, s[0:1], 0x0
	s_cbranch_execz .LBB83_7
	s_branch .LBB83_8
.LBB83_4:
	s_load_dword s28, s[8:9], 0x0
	s_load_dwordx2 s[0:1], s[4:5], 0x58
	s_cbranch_execnz .LBB83_2
.LBB83_5:
	s_waitcnt lgkmcnt(0)
	s_mov_b32 s28, s8
	s_and_b64 vcc, exec, s[2:3]
	s_cbranch_vccnz .LBB83_3
.LBB83_6:
                                        ; implicit-def: $sgpr29
.LBB83_7:
	s_waitcnt lgkmcnt(0)
	s_mov_b32 s29, s0
.LBB83_8:
	s_waitcnt lgkmcnt(0)
	s_cmp_eq_u32 s28, 0
	s_cselect_b64 s[0:1], -1, 0
	s_cmp_eq_u32 s29, 1
	s_cselect_b64 s[2:3], -1, 0
	s_and_b64 s[0:1], s[0:1], s[2:3]
	s_and_b64 vcc, exec, s[0:1]
	s_cbranch_vccnz .LBB83_34
; %bb.9:
	s_load_dword s0, s[4:5], 0x94
	s_load_dwordx4 s[20:23], s[4:5], 0x0
	s_waitcnt lgkmcnt(0)
	s_and_b32 s0, s0, 0xffff
	s_mul_i32 s6, s6, s0
	v_add_u32_e32 v1, s6, v0
	v_lshrrev_b32_e32 v2, 6, v1
	v_cmp_gt_i32_e32 vcc, s21, v2
	s_and_saveexec_b64 s[0:1], vcc
	s_cbranch_execz .LBB83_34
; %bb.10:
	s_cmp_lt_i32 s22, 1
	s_cbranch_scc1 .LBB83_34
; %bb.11:
	s_load_dwordx8 s[8:15], s[4:5], 0x28
	v_lshlrev_b32_e32 v2, 2, v2
	v_lshrrev_b32_e32 v4, 5, v1
	v_bfe_u32 v1, v1, 5, 1
	v_and_b32_e32 v6, 31, v0
	s_waitcnt lgkmcnt(0)
	global_load_dwordx2 v[2:3], v2, s[8:9]
	s_load_dwordx4 s[24:27], s[4:5], 0x60
	s_load_dwordx2 s[6:7], s[4:5], 0x48
	v_lshrrev_b32_e32 v0, 5, v0
	s_cmp_eq_u32 s20, 0
	v_lshlrev_b32_e32 v7, 7, v0
	v_lshlrev_b32_e32 v10, 1, v1
	v_mul_u32_u24_e32 v0, 0x60, v0
	v_or_b32_e32 v5, 2, v1
	s_cselect_b64 vcc, -1, 0
	v_or_b32_e32 v9, 0x100, v0
	v_or_b32_e32 v0, 1, v10
	v_cndmask_b32_e32 v10, v1, v10, vcc
	v_cndmask_b32_e32 v11, v5, v0, vcc
	s_waitcnt lgkmcnt(0)
	v_mad_u64_u32 v[0:1], s[0:1], s26, v4, 0
	v_lshlrev_b32_e32 v13, 2, v4
	v_mov_b32_e32 v14, s25
	v_add_co_u32_e32 v13, vcc, s24, v13
	s_cmp_lg_u32 s29, 0
	v_addc_co_u32_e32 v14, vcc, 0, v14, vcc
	v_mul_u32_u24_e32 v12, 3, v6
	s_cselect_b64 s[4:5], -1, 0
	s_cmp_lg_u32 s16, 1
	v_mov_b32_e32 v16, s25
	s_mov_b32 s23, 0
	s_mov_b32 s30, 0xc0c0400
	;; [unrolled: 1-line block ×3, first 2 shown]
	v_lshl_or_b32 v8, v6, 2, v7
	s_cselect_b64 s[8:9], -1, 0
	v_add_u32_e32 v12, v9, v12
	s_mov_b32 s16, 0xc0c0100
	s_waitcnt vmcnt(0)
	v_mad_u64_u32 v[4:5], s[0:1], s27, v4, v[1:2]
	v_subrev_u32_e32 v17, s17, v2
	v_subrev_u32_e32 v18, s17, v3
	v_mov_b32_e32 v1, v4
	v_lshlrev_b64 v[0:1], 2, v[0:1]
	v_cmp_lt_i32_e64 s[0:1], v2, v3
	v_add_co_u32_e32 v15, vcc, s24, v0
	v_addc_co_u32_e32 v16, vcc, v16, v1, vcc
	s_branch .LBB83_13
.LBB83_12:                              ;   in Loop: Header=BB83_13 Depth=1
	s_or_b64 exec, exec, s[2:3]
	s_add_i32 s23, s23, 32
	s_cmp_lt_i32 s23, s22
	s_cbranch_scc0 .LBB83_34
.LBB83_13:                              ; =>This Loop Header: Depth=1
                                        ;     Child Loop BB83_16 Depth 2
                                        ;       Child Loop BB83_20 Depth 3
	v_or_b32_e32 v0, s23, v6
	v_ashrrev_i32_e32 v1, 31, v0
	v_mov_b32_e32 v19, 0
	s_and_saveexec_b64 s[18:19], s[0:1]
	s_cbranch_execz .LBB83_22
; %bb.14:                               ;   in Loop: Header=BB83_13 Depth=1
	v_mov_b32_e32 v3, s15
	v_add_co_u32_e64 v2, s[2:3], s14, v0
	v_cmp_gt_i32_e32 vcc, s22, v0
	v_addc_co_u32_e64 v3, s[2:3], v3, v1, s[2:3]
	v_mov_b32_e32 v19, 0
	s_mov_b64 s[20:21], 0
	v_mov_b32_e32 v20, v17
	s_branch .LBB83_16
.LBB83_15:                              ;   in Loop: Header=BB83_16 Depth=2
	s_or_b64 exec, exec, s[2:3]
	v_add_u32_e32 v20, 32, v20
	v_cmp_ge_i32_e64 s[2:3], v20, v18
	s_or_b64 s[20:21], s[2:3], s[20:21]
	s_andn2_b64 exec, exec, s[20:21]
	s_cbranch_execz .LBB83_21
.LBB83_16:                              ;   Parent Loop BB83_13 Depth=1
                                        ; =>  This Loop Header: Depth=2
                                        ;       Child Loop BB83_20 Depth 3
	v_add_u32_e32 v4, v20, v6
	v_cmp_lt_i32_e64 s[2:3], v4, v18
	v_mov_b32_e32 v22, 0
	v_mov_b32_e32 v5, 0
	;; [unrolled: 1-line block ×3, first 2 shown]
	s_and_saveexec_b64 s[24:25], s[2:3]
	s_cbranch_execz .LBB83_18
; %bb.17:                               ;   in Loop: Header=BB83_16 Depth=2
	v_ashrrev_i32_e32 v5, 31, v4
	v_lshlrev_b64 v[21:22], 2, v[4:5]
	v_mov_b32_e32 v5, s11
	v_add_co_u32_e64 v21, s[2:3], s10, v21
	v_addc_co_u32_e64 v22, s[2:3], v5, v22, s[2:3]
	global_load_dword v22, v[21:22], off
	v_lshlrev_b32_e32 v4, 2, v4
	v_or_b32_e32 v23, v4, v10
	v_or_b32_e32 v4, v4, v11
	global_load_ubyte v5, v23, s[12:13]
	global_load_ubyte v21, v4, s[12:13]
	s_waitcnt vmcnt(2)
	v_subrev_u32_e32 v4, s17, v22
	v_lshlrev_b32_e32 v22, 1, v4
.LBB83_18:                              ;   in Loop: Header=BB83_16 Depth=2
	s_or_b64 exec, exec, s[24:25]
	ds_write_b32 v8, v22
	s_waitcnt vmcnt(1)
	ds_write_b8 v12, v5
	s_waitcnt vmcnt(0)
	ds_write_b8 v12, v21 offset:1
	s_waitcnt lgkmcnt(0)
	; wave barrier
	s_and_saveexec_b64 s[2:3], vcc
	s_cbranch_execz .LBB83_15
; %bb.19:                               ;   in Loop: Header=BB83_16 Depth=2
	s_mov_b32 s24, 0
	v_mov_b32_e32 v4, v9
.LBB83_20:                              ;   Parent Loop BB83_13 Depth=1
                                        ;     Parent Loop BB83_16 Depth=2
                                        ; =>    This Inner Loop Header: Depth=3
	v_add_u32_e32 v5, s24, v7
	ds_read_b64 v[21:22], v5
	s_add_i32 s24, s24, 8
	s_cmpk_lg_i32 s24, 0x80
	s_waitcnt lgkmcnt(0)
	v_ashrrev_i32_e32 v5, 31, v21
	v_mul_lo_u32 v5, s6, v5
	v_mul_lo_u32 v25, s7, v21
	v_mad_u64_u32 v[23:24], s[34:35], s6, v21, v[2:3]
	v_add_u32_e32 v21, 1, v21
	v_mul_lo_u32 v26, s7, v21
	v_add3_u32 v24, v25, v24, v5
	global_load_sbyte v5, v[23:24], off
	v_ashrrev_i32_e32 v23, 31, v21
	v_mul_lo_u32 v25, s6, v23
	v_mad_u64_u32 v[23:24], s[34:35], s6, v21, v[2:3]
	v_ashrrev_i32_e32 v21, 31, v22
	v_mul_lo_u32 v21, s6, v21
	v_add3_u32 v24, v26, v24, v25
	global_load_sbyte v25, v[23:24], off
	v_mul_lo_u32 v26, s7, v22
	v_mad_u64_u32 v[23:24], s[34:35], s6, v22, v[2:3]
	v_add3_u32 v24, v26, v24, v21
	v_add_u32_e32 v21, 1, v22
	v_ashrrev_i32_e32 v22, 31, v21
	global_load_sbyte v23, v[23:24], off
	v_mul_lo_u32 v24, s6, v22
	v_mul_lo_u32 v26, s7, v21
	v_mad_u64_u32 v[21:22], s[34:35], s6, v21, v[2:3]
	v_add3_u32 v22, v26, v22, v24
	global_load_sbyte v21, v[21:22], off
	ds_read_u16 v22, v4
	ds_read_i8 v24, v4 offset:3
	ds_read_i8 v26, v4 offset:4
	v_add_u32_e32 v4, 6, v4
	s_waitcnt vmcnt(2)
	v_perm_b32 v5, v25, v5, s30
	s_waitcnt vmcnt(0)
	v_perm_b32 v21, v21, v23, s31
	v_or_b32_e32 v5, v21, v5
	s_waitcnt lgkmcnt(2)
	v_perm_b32 v21, v22, v22, s16
	s_waitcnt lgkmcnt(0)
	v_perm_b32 v22, v26, v24, s31
	v_or_b32_e32 v21, v22, v21
	v_dot4_i32_i8 v19, v21, v5, v19
	s_cbranch_scc1 .LBB83_20
	s_branch .LBB83_15
.LBB83_21:                              ;   in Loop: Header=BB83_13 Depth=1
	s_or_b64 exec, exec, s[20:21]
.LBB83_22:                              ;   in Loop: Header=BB83_13 Depth=1
	s_or_b64 exec, exec, s[18:19]
	v_cmp_gt_i32_e32 vcc, s22, v0
	s_and_saveexec_b64 s[2:3], vcc
	s_cbranch_execz .LBB83_12
; %bb.23:                               ;   in Loop: Header=BB83_13 Depth=1
	s_mov_b64 s[18:19], -1
	s_and_b64 vcc, exec, s[4:5]
	s_cbranch_vccz .LBB83_29
; %bb.24:                               ;   in Loop: Header=BB83_13 Depth=1
	s_and_b64 vcc, exec, s[8:9]
	s_cbranch_vccz .LBB83_26
; %bb.25:                               ;   in Loop: Header=BB83_13 Depth=1
	v_lshlrev_b64 v[2:3], 2, v[0:1]
	v_mul_lo_u32 v4, v19, s28
	v_add_co_u32_e32 v2, vcc, v15, v2
	v_addc_co_u32_e32 v3, vcc, v16, v3, vcc
	global_load_dword v5, v[2:3], off
	s_waitcnt vmcnt(0)
	v_mad_u64_u32 v[4:5], s[18:19], v5, s29, v[4:5]
	s_mov_b64 s[18:19], 0
	global_store_dword v[2:3], v4, off
.LBB83_26:                              ;   in Loop: Header=BB83_13 Depth=1
	s_andn2_b64 vcc, exec, s[18:19]
	s_cbranch_vccnz .LBB83_28
; %bb.27:                               ;   in Loop: Header=BB83_13 Depth=1
	v_mul_lo_u32 v4, s27, v0
	v_mul_lo_u32 v5, s26, v1
	v_mad_u64_u32 v[2:3], s[18:19], s26, v0, 0
	v_add3_u32 v3, v3, v5, v4
	v_lshlrev_b64 v[2:3], 2, v[2:3]
	v_mul_lo_u32 v4, v19, s28
	v_add_co_u32_e32 v2, vcc, v13, v2
	v_addc_co_u32_e32 v3, vcc, v14, v3, vcc
	global_load_dword v5, v[2:3], off
	s_waitcnt vmcnt(0)
	v_mad_u64_u32 v[4:5], s[18:19], v5, s29, v[4:5]
	global_store_dword v[2:3], v4, off
.LBB83_28:                              ;   in Loop: Header=BB83_13 Depth=1
	s_mov_b64 s[18:19], 0
.LBB83_29:                              ;   in Loop: Header=BB83_13 Depth=1
	s_andn2_b64 vcc, exec, s[18:19]
	s_cbranch_vccnz .LBB83_12
; %bb.30:                               ;   in Loop: Header=BB83_13 Depth=1
	v_mul_lo_u32 v2, v19, s28
	s_mov_b64 s[18:19], -1
	s_and_b64 vcc, exec, s[8:9]
	s_cbranch_vccz .LBB83_32
; %bb.31:                               ;   in Loop: Header=BB83_13 Depth=1
	v_lshlrev_b64 v[3:4], 2, v[0:1]
	s_mov_b64 s[18:19], 0
	v_add_co_u32_e32 v3, vcc, v15, v3
	v_addc_co_u32_e32 v4, vcc, v16, v4, vcc
	global_store_dword v[3:4], v2, off
.LBB83_32:                              ;   in Loop: Header=BB83_13 Depth=1
	s_andn2_b64 vcc, exec, s[18:19]
	s_cbranch_vccnz .LBB83_12
; %bb.33:                               ;   in Loop: Header=BB83_13 Depth=1
	v_mul_lo_u32 v3, s27, v0
	v_mul_lo_u32 v4, s26, v1
	v_mad_u64_u32 v[0:1], s[18:19], s26, v0, 0
	v_add3_u32 v1, v1, v4, v3
	v_lshlrev_b64 v[0:1], 2, v[0:1]
	v_add_co_u32_e32 v0, vcc, v13, v0
	v_addc_co_u32_e32 v1, vcc, v14, v1, vcc
	global_store_dword v[0:1], v2, off
	s_branch .LBB83_12
.LBB83_34:
	s_endpgm
	.section	.rodata,"a",@progbits
	.p2align	6, 0x0
	.amdhsa_kernel _ZN9rocsparseL29bsrmmnt_small_blockdim_kernelILj64ELj32ELj2EiiaaiiEEv20rocsparse_direction_T3_S2_llNS_24const_host_device_scalarIT7_EEPKT2_PKS2_PKT4_PKT5_llS5_PT6_ll16rocsparse_order_21rocsparse_index_base_b
		.amdhsa_group_segment_fixed_size 448
		.amdhsa_private_segment_fixed_size 0
		.amdhsa_kernarg_size 392
		.amdhsa_user_sgpr_count 6
		.amdhsa_user_sgpr_private_segment_buffer 1
		.amdhsa_user_sgpr_dispatch_ptr 0
		.amdhsa_user_sgpr_queue_ptr 0
		.amdhsa_user_sgpr_kernarg_segment_ptr 1
		.amdhsa_user_sgpr_dispatch_id 0
		.amdhsa_user_sgpr_flat_scratch_init 0
		.amdhsa_user_sgpr_private_segment_size 0
		.amdhsa_uses_dynamic_stack 0
		.amdhsa_system_sgpr_private_segment_wavefront_offset 0
		.amdhsa_system_sgpr_workgroup_id_x 1
		.amdhsa_system_sgpr_workgroup_id_y 0
		.amdhsa_system_sgpr_workgroup_id_z 0
		.amdhsa_system_sgpr_workgroup_info 0
		.amdhsa_system_vgpr_workitem_id 0
		.amdhsa_next_free_vgpr 27
		.amdhsa_next_free_sgpr 36
		.amdhsa_reserve_vcc 1
		.amdhsa_reserve_flat_scratch 0
		.amdhsa_float_round_mode_32 0
		.amdhsa_float_round_mode_16_64 0
		.amdhsa_float_denorm_mode_32 3
		.amdhsa_float_denorm_mode_16_64 3
		.amdhsa_dx10_clamp 1
		.amdhsa_ieee_mode 1
		.amdhsa_fp16_overflow 0
		.amdhsa_exception_fp_ieee_invalid_op 0
		.amdhsa_exception_fp_denorm_src 0
		.amdhsa_exception_fp_ieee_div_zero 0
		.amdhsa_exception_fp_ieee_overflow 0
		.amdhsa_exception_fp_ieee_underflow 0
		.amdhsa_exception_fp_ieee_inexact 0
		.amdhsa_exception_int_div_zero 0
	.end_amdhsa_kernel
	.section	.text._ZN9rocsparseL29bsrmmnt_small_blockdim_kernelILj64ELj32ELj2EiiaaiiEEv20rocsparse_direction_T3_S2_llNS_24const_host_device_scalarIT7_EEPKT2_PKS2_PKT4_PKT5_llS5_PT6_ll16rocsparse_order_21rocsparse_index_base_b,"axG",@progbits,_ZN9rocsparseL29bsrmmnt_small_blockdim_kernelILj64ELj32ELj2EiiaaiiEEv20rocsparse_direction_T3_S2_llNS_24const_host_device_scalarIT7_EEPKT2_PKS2_PKT4_PKT5_llS5_PT6_ll16rocsparse_order_21rocsparse_index_base_b,comdat
.Lfunc_end83:
	.size	_ZN9rocsparseL29bsrmmnt_small_blockdim_kernelILj64ELj32ELj2EiiaaiiEEv20rocsparse_direction_T3_S2_llNS_24const_host_device_scalarIT7_EEPKT2_PKS2_PKT4_PKT5_llS5_PT6_ll16rocsparse_order_21rocsparse_index_base_b, .Lfunc_end83-_ZN9rocsparseL29bsrmmnt_small_blockdim_kernelILj64ELj32ELj2EiiaaiiEEv20rocsparse_direction_T3_S2_llNS_24const_host_device_scalarIT7_EEPKT2_PKS2_PKT4_PKT5_llS5_PT6_ll16rocsparse_order_21rocsparse_index_base_b
                                        ; -- End function
	.set _ZN9rocsparseL29bsrmmnt_small_blockdim_kernelILj64ELj32ELj2EiiaaiiEEv20rocsparse_direction_T3_S2_llNS_24const_host_device_scalarIT7_EEPKT2_PKS2_PKT4_PKT5_llS5_PT6_ll16rocsparse_order_21rocsparse_index_base_b.num_vgpr, 27
	.set _ZN9rocsparseL29bsrmmnt_small_blockdim_kernelILj64ELj32ELj2EiiaaiiEEv20rocsparse_direction_T3_S2_llNS_24const_host_device_scalarIT7_EEPKT2_PKS2_PKT4_PKT5_llS5_PT6_ll16rocsparse_order_21rocsparse_index_base_b.num_agpr, 0
	.set _ZN9rocsparseL29bsrmmnt_small_blockdim_kernelILj64ELj32ELj2EiiaaiiEEv20rocsparse_direction_T3_S2_llNS_24const_host_device_scalarIT7_EEPKT2_PKS2_PKT4_PKT5_llS5_PT6_ll16rocsparse_order_21rocsparse_index_base_b.numbered_sgpr, 36
	.set _ZN9rocsparseL29bsrmmnt_small_blockdim_kernelILj64ELj32ELj2EiiaaiiEEv20rocsparse_direction_T3_S2_llNS_24const_host_device_scalarIT7_EEPKT2_PKS2_PKT4_PKT5_llS5_PT6_ll16rocsparse_order_21rocsparse_index_base_b.num_named_barrier, 0
	.set _ZN9rocsparseL29bsrmmnt_small_blockdim_kernelILj64ELj32ELj2EiiaaiiEEv20rocsparse_direction_T3_S2_llNS_24const_host_device_scalarIT7_EEPKT2_PKS2_PKT4_PKT5_llS5_PT6_ll16rocsparse_order_21rocsparse_index_base_b.private_seg_size, 0
	.set _ZN9rocsparseL29bsrmmnt_small_blockdim_kernelILj64ELj32ELj2EiiaaiiEEv20rocsparse_direction_T3_S2_llNS_24const_host_device_scalarIT7_EEPKT2_PKS2_PKT4_PKT5_llS5_PT6_ll16rocsparse_order_21rocsparse_index_base_b.uses_vcc, 1
	.set _ZN9rocsparseL29bsrmmnt_small_blockdim_kernelILj64ELj32ELj2EiiaaiiEEv20rocsparse_direction_T3_S2_llNS_24const_host_device_scalarIT7_EEPKT2_PKS2_PKT4_PKT5_llS5_PT6_ll16rocsparse_order_21rocsparse_index_base_b.uses_flat_scratch, 0
	.set _ZN9rocsparseL29bsrmmnt_small_blockdim_kernelILj64ELj32ELj2EiiaaiiEEv20rocsparse_direction_T3_S2_llNS_24const_host_device_scalarIT7_EEPKT2_PKS2_PKT4_PKT5_llS5_PT6_ll16rocsparse_order_21rocsparse_index_base_b.has_dyn_sized_stack, 0
	.set _ZN9rocsparseL29bsrmmnt_small_blockdim_kernelILj64ELj32ELj2EiiaaiiEEv20rocsparse_direction_T3_S2_llNS_24const_host_device_scalarIT7_EEPKT2_PKS2_PKT4_PKT5_llS5_PT6_ll16rocsparse_order_21rocsparse_index_base_b.has_recursion, 0
	.set _ZN9rocsparseL29bsrmmnt_small_blockdim_kernelILj64ELj32ELj2EiiaaiiEEv20rocsparse_direction_T3_S2_llNS_24const_host_device_scalarIT7_EEPKT2_PKS2_PKT4_PKT5_llS5_PT6_ll16rocsparse_order_21rocsparse_index_base_b.has_indirect_call, 0
	.section	.AMDGPU.csdata,"",@progbits
; Kernel info:
; codeLenInByte = 1376
; TotalNumSgprs: 40
; NumVgprs: 27
; ScratchSize: 0
; MemoryBound: 0
; FloatMode: 240
; IeeeMode: 1
; LDSByteSize: 448 bytes/workgroup (compile time only)
; SGPRBlocks: 4
; VGPRBlocks: 6
; NumSGPRsForWavesPerEU: 40
; NumVGPRsForWavesPerEU: 27
; Occupancy: 9
; WaveLimiterHint : 0
; COMPUTE_PGM_RSRC2:SCRATCH_EN: 0
; COMPUTE_PGM_RSRC2:USER_SGPR: 6
; COMPUTE_PGM_RSRC2:TRAP_HANDLER: 0
; COMPUTE_PGM_RSRC2:TGID_X_EN: 1
; COMPUTE_PGM_RSRC2:TGID_Y_EN: 0
; COMPUTE_PGM_RSRC2:TGID_Z_EN: 0
; COMPUTE_PGM_RSRC2:TIDIG_COMP_CNT: 0
	.section	.text._ZN9rocsparseL29bsrmmnt_small_blockdim_kernelILj64ELj64ELj2EiiaaiiEEv20rocsparse_direction_T3_S2_llNS_24const_host_device_scalarIT7_EEPKT2_PKS2_PKT4_PKT5_llS5_PT6_ll16rocsparse_order_21rocsparse_index_base_b,"axG",@progbits,_ZN9rocsparseL29bsrmmnt_small_blockdim_kernelILj64ELj64ELj2EiiaaiiEEv20rocsparse_direction_T3_S2_llNS_24const_host_device_scalarIT7_EEPKT2_PKS2_PKT4_PKT5_llS5_PT6_ll16rocsparse_order_21rocsparse_index_base_b,comdat
	.globl	_ZN9rocsparseL29bsrmmnt_small_blockdim_kernelILj64ELj64ELj2EiiaaiiEEv20rocsparse_direction_T3_S2_llNS_24const_host_device_scalarIT7_EEPKT2_PKS2_PKT4_PKT5_llS5_PT6_ll16rocsparse_order_21rocsparse_index_base_b ; -- Begin function _ZN9rocsparseL29bsrmmnt_small_blockdim_kernelILj64ELj64ELj2EiiaaiiEEv20rocsparse_direction_T3_S2_llNS_24const_host_device_scalarIT7_EEPKT2_PKS2_PKT4_PKT5_llS5_PT6_ll16rocsparse_order_21rocsparse_index_base_b
	.p2align	8
	.type	_ZN9rocsparseL29bsrmmnt_small_blockdim_kernelILj64ELj64ELj2EiiaaiiEEv20rocsparse_direction_T3_S2_llNS_24const_host_device_scalarIT7_EEPKT2_PKS2_PKT4_PKT5_llS5_PT6_ll16rocsparse_order_21rocsparse_index_base_b,@function
_ZN9rocsparseL29bsrmmnt_small_blockdim_kernelILj64ELj64ELj2EiiaaiiEEv20rocsparse_direction_T3_S2_llNS_24const_host_device_scalarIT7_EEPKT2_PKS2_PKT4_PKT5_llS5_PT6_ll16rocsparse_order_21rocsparse_index_base_b: ; @_ZN9rocsparseL29bsrmmnt_small_blockdim_kernelILj64ELj64ELj2EiiaaiiEEv20rocsparse_direction_T3_S2_llNS_24const_host_device_scalarIT7_EEPKT2_PKS2_PKT4_PKT5_llS5_PT6_ll16rocsparse_order_21rocsparse_index_base_b
; %bb.0:
	s_load_dwordx4 s[16:19], s[4:5], 0x78
	s_load_dwordx2 s[8:9], s[4:5], 0x20
	s_mov_b64 s[10:11], -1
                                        ; implicit-def: $sgpr28
	s_waitcnt lgkmcnt(0)
	s_bitcmp1_b32 s18, 0
	s_cselect_b64 s[0:1], -1, 0
	s_xor_b64 s[2:3], s[0:1], -1
	s_and_b64 vcc, exec, s[2:3]
	s_cbranch_vccnz .LBB84_4
; %bb.1:
	s_load_dwordx2 s[0:1], s[4:5], 0x58
	s_andn2_b64 vcc, exec, s[10:11]
	s_cbranch_vccz .LBB84_5
.LBB84_2:
	s_and_b64 vcc, exec, s[2:3]
	s_cbranch_vccz .LBB84_6
.LBB84_3:
	s_waitcnt lgkmcnt(0)
	s_load_dword s29, s[0:1], 0x0
	s_cbranch_execz .LBB84_7
	s_branch .LBB84_8
.LBB84_4:
	s_load_dword s28, s[8:9], 0x0
	s_load_dwordx2 s[0:1], s[4:5], 0x58
	s_cbranch_execnz .LBB84_2
.LBB84_5:
	s_waitcnt lgkmcnt(0)
	s_mov_b32 s28, s8
	s_and_b64 vcc, exec, s[2:3]
	s_cbranch_vccnz .LBB84_3
.LBB84_6:
                                        ; implicit-def: $sgpr29
.LBB84_7:
	s_waitcnt lgkmcnt(0)
	s_mov_b32 s29, s0
.LBB84_8:
	s_waitcnt lgkmcnt(0)
	s_cmp_eq_u32 s28, 0
	s_cselect_b64 s[0:1], -1, 0
	s_cmp_eq_u32 s29, 1
	s_cselect_b64 s[2:3], -1, 0
	s_and_b64 s[0:1], s[0:1], s[2:3]
	s_and_b64 vcc, exec, s[0:1]
	s_cbranch_vccnz .LBB84_34
; %bb.9:
	s_load_dword s0, s[4:5], 0x94
	s_load_dwordx4 s[20:23], s[4:5], 0x0
	s_waitcnt lgkmcnt(0)
	s_and_b32 s0, s0, 0xffff
	s_mul_i32 s6, s6, s0
	v_add_u32_e32 v1, s6, v0
	v_lshrrev_b32_e32 v2, 7, v1
	v_cmp_gt_i32_e32 vcc, s21, v2
	s_and_saveexec_b64 s[0:1], vcc
	s_cbranch_execz .LBB84_34
; %bb.10:
	s_cmp_lt_i32 s22, 1
	s_cbranch_scc1 .LBB84_34
; %bb.11:
	s_load_dwordx8 s[8:15], s[4:5], 0x28
	v_lshlrev_b32_e32 v2, 2, v2
	v_lshrrev_b32_e32 v6, 6, v1
	v_bfe_u32 v1, v1, 6, 1
	s_cmp_eq_u32 s20, 0
	s_waitcnt lgkmcnt(0)
	global_load_dwordx2 v[2:3], v2, s[8:9]
	s_load_dwordx4 s[24:27], s[4:5], 0x60
	s_load_dwordx2 s[6:7], s[4:5], 0x48
	v_mul_u32_u24_e32 v4, 3, v0
	v_lshlrev_b32_e32 v5, 1, v1
	s_cselect_b64 vcc, -1, 0
	v_add_u32_e32 v8, 0x100, v4
	v_or_b32_e32 v12, 1, v5
	v_cndmask_b32_e32 v9, v1, v5, vcc
	s_waitcnt lgkmcnt(0)
	v_mad_u64_u32 v[4:5], s[0:1], s26, v6, 0
	v_or_b32_e32 v10, 2, v1
	v_lshlrev_b32_e32 v11, 2, v6
	v_mov_b32_e32 v1, v5
	v_cndmask_b32_e32 v10, v10, v12, vcc
	v_mov_b32_e32 v12, s25
	v_add_co_u32_e32 v11, vcc, s24, v11
	s_cmp_lg_u32 s29, 0
	v_addc_co_u32_e32 v12, vcc, 0, v12, vcc
	s_cselect_b64 s[4:5], -1, 0
	s_cmp_lg_u32 s16, 1
	v_mov_b32_e32 v14, s25
	s_mov_b32 s23, 0
	v_lshlrev_b32_e32 v7, 2, v0
	s_mov_b32 s30, 0xc0c0400
	s_mov_b32 s31, 0x4000c0c
	s_cselect_b64 s[8:9], -1, 0
	s_mov_b32 s16, 0xc0c0100
	s_waitcnt vmcnt(0)
	v_mad_u64_u32 v[5:6], s[0:1], s27, v6, v[1:2]
	v_subrev_u32_e32 v15, s17, v2
	v_subrev_u32_e32 v16, s17, v3
	v_lshlrev_b64 v[4:5], 2, v[4:5]
	v_cmp_lt_i32_e64 s[0:1], v2, v3
	v_add_co_u32_e32 v13, vcc, s24, v4
	v_addc_co_u32_e32 v14, vcc, v14, v5, vcc
	s_branch .LBB84_13
.LBB84_12:                              ;   in Loop: Header=BB84_13 Depth=1
	s_or_b64 exec, exec, s[2:3]
	s_add_i32 s23, s23, 64
	s_cmp_lt_i32 s23, s22
	s_cbranch_scc0 .LBB84_34
.LBB84_13:                              ; =>This Loop Header: Depth=1
                                        ;     Child Loop BB84_16 Depth 2
                                        ;       Child Loop BB84_20 Depth 3
	v_or_b32_e32 v1, s23, v0
	v_ashrrev_i32_e32 v2, 31, v1
	v_mov_b32_e32 v17, 0
	s_and_saveexec_b64 s[18:19], s[0:1]
	s_cbranch_execz .LBB84_22
; %bb.14:                               ;   in Loop: Header=BB84_13 Depth=1
	v_mov_b32_e32 v4, s15
	v_add_co_u32_e64 v3, s[2:3], s14, v1
	v_cmp_gt_i32_e32 vcc, s22, v1
	v_addc_co_u32_e64 v4, s[2:3], v4, v2, s[2:3]
	v_mov_b32_e32 v17, 0
	s_mov_b64 s[20:21], 0
	v_mov_b32_e32 v18, v15
	s_branch .LBB84_16
.LBB84_15:                              ;   in Loop: Header=BB84_16 Depth=2
	s_or_b64 exec, exec, s[2:3]
	v_add_u32_e32 v18, 64, v18
	v_cmp_ge_i32_e64 s[2:3], v18, v16
	s_or_b64 s[20:21], s[2:3], s[20:21]
	s_andn2_b64 exec, exec, s[20:21]
	s_cbranch_execz .LBB84_21
.LBB84_16:                              ;   Parent Loop BB84_13 Depth=1
                                        ; =>  This Loop Header: Depth=2
                                        ;       Child Loop BB84_20 Depth 3
	v_add_u32_e32 v5, v18, v0
	v_cmp_lt_i32_e64 s[2:3], v5, v16
	v_mov_b32_e32 v20, 0
	v_mov_b32_e32 v6, 0
	;; [unrolled: 1-line block ×3, first 2 shown]
	s_and_saveexec_b64 s[24:25], s[2:3]
	s_cbranch_execz .LBB84_18
; %bb.17:                               ;   in Loop: Header=BB84_16 Depth=2
	v_ashrrev_i32_e32 v6, 31, v5
	v_lshlrev_b64 v[19:20], 2, v[5:6]
	v_mov_b32_e32 v6, s11
	v_add_co_u32_e64 v19, s[2:3], s10, v19
	v_addc_co_u32_e64 v20, s[2:3], v6, v20, s[2:3]
	global_load_dword v20, v[19:20], off
	v_lshlrev_b32_e32 v5, 2, v5
	v_or_b32_e32 v21, v5, v9
	v_or_b32_e32 v5, v5, v10
	global_load_ubyte v6, v21, s[12:13]
	global_load_ubyte v19, v5, s[12:13]
	s_waitcnt vmcnt(2)
	v_subrev_u32_e32 v5, s17, v20
	v_lshlrev_b32_e32 v20, 1, v5
.LBB84_18:                              ;   in Loop: Header=BB84_16 Depth=2
	s_or_b64 exec, exec, s[24:25]
	ds_write_b32 v7, v20
	s_waitcnt vmcnt(1)
	ds_write_b8 v8, v6
	s_waitcnt vmcnt(0)
	ds_write_b8 v8, v19 offset:1
	s_waitcnt lgkmcnt(0)
	; wave barrier
	s_and_saveexec_b64 s[2:3], vcc
	s_cbranch_execz .LBB84_15
; %bb.19:                               ;   in Loop: Header=BB84_16 Depth=2
	s_mov_b32 s24, 0
	v_mov_b32_e32 v5, 0x100
.LBB84_20:                              ;   Parent Loop BB84_13 Depth=1
                                        ;     Parent Loop BB84_16 Depth=2
                                        ; =>    This Inner Loop Header: Depth=3
	v_mov_b32_e32 v6, s24
	ds_read_b64 v[19:20], v6
	s_add_i32 s24, s24, 8
	s_waitcnt lgkmcnt(0)
	v_readfirstlane_b32 s25, v19
	v_readfirstlane_b32 s33, v20
	s_ashr_i32 s34, s25, 31
	s_mul_i32 s36, s7, s25
	v_mov_b32_e32 v6, s25
	s_add_i32 s25, s25, 1
	s_ashr_i32 s37, s33, 31
	s_mul_i32 s38, s7, s33
	v_mov_b32_e32 v21, s33
	s_add_i32 s33, s33, 1
	s_mul_i32 s39, s6, s34
	v_mad_u64_u32 v[19:20], s[34:35], s6, v6, v[3:4]
	v_mov_b32_e32 v6, s25
	v_mov_b32_e32 v25, s33
	v_mad_u64_u32 v[21:22], s[34:35], s6, v21, v[3:4]
	v_mad_u64_u32 v[23:24], s[34:35], s6, v6, v[3:4]
	;; [unrolled: 1-line block ×3, first 2 shown]
	s_ashr_i32 s40, s25, 31
	s_mul_i32 s41, s7, s25
	s_mul_i32 s25, s6, s37
	s_ashr_i32 s37, s33, 31
	s_mul_i32 s42, s7, s33
	s_add_i32 s39, s39, s36
	s_mul_i32 s33, s6, s40
	s_mul_i32 s36, s6, s37
	s_add_i32 s25, s25, s38
	s_add_i32 s33, s33, s41
	;; [unrolled: 1-line block ×3, first 2 shown]
	v_add_u32_e32 v20, s39, v20
	v_add_u32_e32 v22, s25, v22
	;; [unrolled: 1-line block ×4, first 2 shown]
	global_load_sbyte v6, v[19:20], off
	global_load_sbyte v27, v[23:24], off
                                        ; kill: killed $vgpr23 killed $vgpr24
                                        ; kill: killed $vgpr19 killed $vgpr20
	s_nop 0
	global_load_sbyte v19, v[21:22], off
	global_load_sbyte v20, v[25:26], off
	ds_read_u16 v21, v5
	ds_read_i8 v22, v5 offset:3
	ds_read_i8 v23, v5 offset:4
	v_add_u32_e32 v5, 6, v5
	s_cmpk_lg_i32 s24, 0x100
	s_waitcnt lgkmcnt(2)
	v_perm_b32 v21, v21, v21, s16
	s_waitcnt lgkmcnt(0)
	v_perm_b32 v22, v23, v22, s31
	v_or_b32_e32 v21, v22, v21
	s_waitcnt vmcnt(2)
	v_perm_b32 v6, v27, v6, s30
	s_waitcnt vmcnt(0)
	v_perm_b32 v19, v20, v19, s31
	v_or_b32_e32 v6, v19, v6
	v_dot4_i32_i8 v17, v21, v6, v17
	s_cbranch_scc1 .LBB84_20
	s_branch .LBB84_15
.LBB84_21:                              ;   in Loop: Header=BB84_13 Depth=1
	s_or_b64 exec, exec, s[20:21]
.LBB84_22:                              ;   in Loop: Header=BB84_13 Depth=1
	s_or_b64 exec, exec, s[18:19]
	v_cmp_gt_i32_e32 vcc, s22, v1
	s_and_saveexec_b64 s[2:3], vcc
	s_cbranch_execz .LBB84_12
; %bb.23:                               ;   in Loop: Header=BB84_13 Depth=1
	s_mov_b64 s[18:19], -1
	s_and_b64 vcc, exec, s[4:5]
	s_cbranch_vccz .LBB84_29
; %bb.24:                               ;   in Loop: Header=BB84_13 Depth=1
	s_and_b64 vcc, exec, s[8:9]
	s_cbranch_vccz .LBB84_26
; %bb.25:                               ;   in Loop: Header=BB84_13 Depth=1
	v_lshlrev_b64 v[3:4], 2, v[1:2]
	v_mul_lo_u32 v5, v17, s28
	v_add_co_u32_e32 v3, vcc, v13, v3
	v_addc_co_u32_e32 v4, vcc, v14, v4, vcc
	global_load_dword v6, v[3:4], off
	s_waitcnt vmcnt(0)
	v_mad_u64_u32 v[5:6], s[18:19], v6, s29, v[5:6]
	s_mov_b64 s[18:19], 0
	global_store_dword v[3:4], v5, off
.LBB84_26:                              ;   in Loop: Header=BB84_13 Depth=1
	s_andn2_b64 vcc, exec, s[18:19]
	s_cbranch_vccnz .LBB84_28
; %bb.27:                               ;   in Loop: Header=BB84_13 Depth=1
	v_mul_lo_u32 v5, s27, v1
	v_mul_lo_u32 v6, s26, v2
	v_mad_u64_u32 v[3:4], s[18:19], s26, v1, 0
	v_add3_u32 v4, v4, v6, v5
	v_lshlrev_b64 v[3:4], 2, v[3:4]
	v_mul_lo_u32 v5, v17, s28
	v_add_co_u32_e32 v3, vcc, v11, v3
	v_addc_co_u32_e32 v4, vcc, v12, v4, vcc
	global_load_dword v6, v[3:4], off
	s_waitcnt vmcnt(0)
	v_mad_u64_u32 v[5:6], s[18:19], v6, s29, v[5:6]
	global_store_dword v[3:4], v5, off
.LBB84_28:                              ;   in Loop: Header=BB84_13 Depth=1
	s_mov_b64 s[18:19], 0
.LBB84_29:                              ;   in Loop: Header=BB84_13 Depth=1
	s_andn2_b64 vcc, exec, s[18:19]
	s_cbranch_vccnz .LBB84_12
; %bb.30:                               ;   in Loop: Header=BB84_13 Depth=1
	v_mul_lo_u32 v3, v17, s28
	s_mov_b64 s[18:19], -1
	s_and_b64 vcc, exec, s[8:9]
	s_cbranch_vccz .LBB84_32
; %bb.31:                               ;   in Loop: Header=BB84_13 Depth=1
	v_lshlrev_b64 v[4:5], 2, v[1:2]
	s_mov_b64 s[18:19], 0
	v_add_co_u32_e32 v4, vcc, v13, v4
	v_addc_co_u32_e32 v5, vcc, v14, v5, vcc
	global_store_dword v[4:5], v3, off
.LBB84_32:                              ;   in Loop: Header=BB84_13 Depth=1
	s_andn2_b64 vcc, exec, s[18:19]
	s_cbranch_vccnz .LBB84_12
; %bb.33:                               ;   in Loop: Header=BB84_13 Depth=1
	v_mul_lo_u32 v4, s27, v1
	v_mul_lo_u32 v5, s26, v2
	v_mad_u64_u32 v[1:2], s[18:19], s26, v1, 0
	v_add3_u32 v2, v2, v5, v4
	v_lshlrev_b64 v[1:2], 2, v[1:2]
	v_add_co_u32_e32 v1, vcc, v11, v1
	v_addc_co_u32_e32 v2, vcc, v12, v2, vcc
	global_store_dword v[1:2], v3, off
	s_branch .LBB84_12
.LBB84_34:
	s_endpgm
	.section	.rodata,"a",@progbits
	.p2align	6, 0x0
	.amdhsa_kernel _ZN9rocsparseL29bsrmmnt_small_blockdim_kernelILj64ELj64ELj2EiiaaiiEEv20rocsparse_direction_T3_S2_llNS_24const_host_device_scalarIT7_EEPKT2_PKS2_PKT4_PKT5_llS5_PT6_ll16rocsparse_order_21rocsparse_index_base_b
		.amdhsa_group_segment_fixed_size 448
		.amdhsa_private_segment_fixed_size 0
		.amdhsa_kernarg_size 392
		.amdhsa_user_sgpr_count 6
		.amdhsa_user_sgpr_private_segment_buffer 1
		.amdhsa_user_sgpr_dispatch_ptr 0
		.amdhsa_user_sgpr_queue_ptr 0
		.amdhsa_user_sgpr_kernarg_segment_ptr 1
		.amdhsa_user_sgpr_dispatch_id 0
		.amdhsa_user_sgpr_flat_scratch_init 0
		.amdhsa_user_sgpr_private_segment_size 0
		.amdhsa_uses_dynamic_stack 0
		.amdhsa_system_sgpr_private_segment_wavefront_offset 0
		.amdhsa_system_sgpr_workgroup_id_x 1
		.amdhsa_system_sgpr_workgroup_id_y 0
		.amdhsa_system_sgpr_workgroup_id_z 0
		.amdhsa_system_sgpr_workgroup_info 0
		.amdhsa_system_vgpr_workitem_id 0
		.amdhsa_next_free_vgpr 28
		.amdhsa_next_free_sgpr 43
		.amdhsa_reserve_vcc 1
		.amdhsa_reserve_flat_scratch 0
		.amdhsa_float_round_mode_32 0
		.amdhsa_float_round_mode_16_64 0
		.amdhsa_float_denorm_mode_32 3
		.amdhsa_float_denorm_mode_16_64 3
		.amdhsa_dx10_clamp 1
		.amdhsa_ieee_mode 1
		.amdhsa_fp16_overflow 0
		.amdhsa_exception_fp_ieee_invalid_op 0
		.amdhsa_exception_fp_denorm_src 0
		.amdhsa_exception_fp_ieee_div_zero 0
		.amdhsa_exception_fp_ieee_overflow 0
		.amdhsa_exception_fp_ieee_underflow 0
		.amdhsa_exception_fp_ieee_inexact 0
		.amdhsa_exception_int_div_zero 0
	.end_amdhsa_kernel
	.section	.text._ZN9rocsparseL29bsrmmnt_small_blockdim_kernelILj64ELj64ELj2EiiaaiiEEv20rocsparse_direction_T3_S2_llNS_24const_host_device_scalarIT7_EEPKT2_PKS2_PKT4_PKT5_llS5_PT6_ll16rocsparse_order_21rocsparse_index_base_b,"axG",@progbits,_ZN9rocsparseL29bsrmmnt_small_blockdim_kernelILj64ELj64ELj2EiiaaiiEEv20rocsparse_direction_T3_S2_llNS_24const_host_device_scalarIT7_EEPKT2_PKS2_PKT4_PKT5_llS5_PT6_ll16rocsparse_order_21rocsparse_index_base_b,comdat
.Lfunc_end84:
	.size	_ZN9rocsparseL29bsrmmnt_small_blockdim_kernelILj64ELj64ELj2EiiaaiiEEv20rocsparse_direction_T3_S2_llNS_24const_host_device_scalarIT7_EEPKT2_PKS2_PKT4_PKT5_llS5_PT6_ll16rocsparse_order_21rocsparse_index_base_b, .Lfunc_end84-_ZN9rocsparseL29bsrmmnt_small_blockdim_kernelILj64ELj64ELj2EiiaaiiEEv20rocsparse_direction_T3_S2_llNS_24const_host_device_scalarIT7_EEPKT2_PKS2_PKT4_PKT5_llS5_PT6_ll16rocsparse_order_21rocsparse_index_base_b
                                        ; -- End function
	.set _ZN9rocsparseL29bsrmmnt_small_blockdim_kernelILj64ELj64ELj2EiiaaiiEEv20rocsparse_direction_T3_S2_llNS_24const_host_device_scalarIT7_EEPKT2_PKS2_PKT4_PKT5_llS5_PT6_ll16rocsparse_order_21rocsparse_index_base_b.num_vgpr, 28
	.set _ZN9rocsparseL29bsrmmnt_small_blockdim_kernelILj64ELj64ELj2EiiaaiiEEv20rocsparse_direction_T3_S2_llNS_24const_host_device_scalarIT7_EEPKT2_PKS2_PKT4_PKT5_llS5_PT6_ll16rocsparse_order_21rocsparse_index_base_b.num_agpr, 0
	.set _ZN9rocsparseL29bsrmmnt_small_blockdim_kernelILj64ELj64ELj2EiiaaiiEEv20rocsparse_direction_T3_S2_llNS_24const_host_device_scalarIT7_EEPKT2_PKS2_PKT4_PKT5_llS5_PT6_ll16rocsparse_order_21rocsparse_index_base_b.numbered_sgpr, 43
	.set _ZN9rocsparseL29bsrmmnt_small_blockdim_kernelILj64ELj64ELj2EiiaaiiEEv20rocsparse_direction_T3_S2_llNS_24const_host_device_scalarIT7_EEPKT2_PKS2_PKT4_PKT5_llS5_PT6_ll16rocsparse_order_21rocsparse_index_base_b.num_named_barrier, 0
	.set _ZN9rocsparseL29bsrmmnt_small_blockdim_kernelILj64ELj64ELj2EiiaaiiEEv20rocsparse_direction_T3_S2_llNS_24const_host_device_scalarIT7_EEPKT2_PKS2_PKT4_PKT5_llS5_PT6_ll16rocsparse_order_21rocsparse_index_base_b.private_seg_size, 0
	.set _ZN9rocsparseL29bsrmmnt_small_blockdim_kernelILj64ELj64ELj2EiiaaiiEEv20rocsparse_direction_T3_S2_llNS_24const_host_device_scalarIT7_EEPKT2_PKS2_PKT4_PKT5_llS5_PT6_ll16rocsparse_order_21rocsparse_index_base_b.uses_vcc, 1
	.set _ZN9rocsparseL29bsrmmnt_small_blockdim_kernelILj64ELj64ELj2EiiaaiiEEv20rocsparse_direction_T3_S2_llNS_24const_host_device_scalarIT7_EEPKT2_PKS2_PKT4_PKT5_llS5_PT6_ll16rocsparse_order_21rocsparse_index_base_b.uses_flat_scratch, 0
	.set _ZN9rocsparseL29bsrmmnt_small_blockdim_kernelILj64ELj64ELj2EiiaaiiEEv20rocsparse_direction_T3_S2_llNS_24const_host_device_scalarIT7_EEPKT2_PKS2_PKT4_PKT5_llS5_PT6_ll16rocsparse_order_21rocsparse_index_base_b.has_dyn_sized_stack, 0
	.set _ZN9rocsparseL29bsrmmnt_small_blockdim_kernelILj64ELj64ELj2EiiaaiiEEv20rocsparse_direction_T3_S2_llNS_24const_host_device_scalarIT7_EEPKT2_PKS2_PKT4_PKT5_llS5_PT6_ll16rocsparse_order_21rocsparse_index_base_b.has_recursion, 0
	.set _ZN9rocsparseL29bsrmmnt_small_blockdim_kernelILj64ELj64ELj2EiiaaiiEEv20rocsparse_direction_T3_S2_llNS_24const_host_device_scalarIT7_EEPKT2_PKS2_PKT4_PKT5_llS5_PT6_ll16rocsparse_order_21rocsparse_index_base_b.has_indirect_call, 0
	.section	.AMDGPU.csdata,"",@progbits
; Kernel info:
; codeLenInByte = 1348
; TotalNumSgprs: 47
; NumVgprs: 28
; ScratchSize: 0
; MemoryBound: 0
; FloatMode: 240
; IeeeMode: 1
; LDSByteSize: 448 bytes/workgroup (compile time only)
; SGPRBlocks: 5
; VGPRBlocks: 6
; NumSGPRsForWavesPerEU: 47
; NumVGPRsForWavesPerEU: 28
; Occupancy: 9
; WaveLimiterHint : 0
; COMPUTE_PGM_RSRC2:SCRATCH_EN: 0
; COMPUTE_PGM_RSRC2:USER_SGPR: 6
; COMPUTE_PGM_RSRC2:TRAP_HANDLER: 0
; COMPUTE_PGM_RSRC2:TGID_X_EN: 1
; COMPUTE_PGM_RSRC2:TGID_Y_EN: 0
; COMPUTE_PGM_RSRC2:TGID_Z_EN: 0
; COMPUTE_PGM_RSRC2:TIDIG_COMP_CNT: 0
	.section	.text._ZN9rocsparseL29bsrmmnt_small_blockdim_kernelILj64ELj8ELj2EliaaiiEEv20rocsparse_direction_T3_S2_llNS_24const_host_device_scalarIT7_EEPKT2_PKS2_PKT4_PKT5_llS5_PT6_ll16rocsparse_order_21rocsparse_index_base_b,"axG",@progbits,_ZN9rocsparseL29bsrmmnt_small_blockdim_kernelILj64ELj8ELj2EliaaiiEEv20rocsparse_direction_T3_S2_llNS_24const_host_device_scalarIT7_EEPKT2_PKS2_PKT4_PKT5_llS5_PT6_ll16rocsparse_order_21rocsparse_index_base_b,comdat
	.globl	_ZN9rocsparseL29bsrmmnt_small_blockdim_kernelILj64ELj8ELj2EliaaiiEEv20rocsparse_direction_T3_S2_llNS_24const_host_device_scalarIT7_EEPKT2_PKS2_PKT4_PKT5_llS5_PT6_ll16rocsparse_order_21rocsparse_index_base_b ; -- Begin function _ZN9rocsparseL29bsrmmnt_small_blockdim_kernelILj64ELj8ELj2EliaaiiEEv20rocsparse_direction_T3_S2_llNS_24const_host_device_scalarIT7_EEPKT2_PKS2_PKT4_PKT5_llS5_PT6_ll16rocsparse_order_21rocsparse_index_base_b
	.p2align	8
	.type	_ZN9rocsparseL29bsrmmnt_small_blockdim_kernelILj64ELj8ELj2EliaaiiEEv20rocsparse_direction_T3_S2_llNS_24const_host_device_scalarIT7_EEPKT2_PKS2_PKT4_PKT5_llS5_PT6_ll16rocsparse_order_21rocsparse_index_base_b,@function
_ZN9rocsparseL29bsrmmnt_small_blockdim_kernelILj64ELj8ELj2EliaaiiEEv20rocsparse_direction_T3_S2_llNS_24const_host_device_scalarIT7_EEPKT2_PKS2_PKT4_PKT5_llS5_PT6_ll16rocsparse_order_21rocsparse_index_base_b: ; @_ZN9rocsparseL29bsrmmnt_small_blockdim_kernelILj64ELj8ELj2EliaaiiEEv20rocsparse_direction_T3_S2_llNS_24const_host_device_scalarIT7_EEPKT2_PKS2_PKT4_PKT5_llS5_PT6_ll16rocsparse_order_21rocsparse_index_base_b
; %bb.0:
	s_load_dwordx4 s[16:19], s[4:5], 0x78
	s_load_dwordx2 s[8:9], s[4:5], 0x20
	s_mov_b64 s[10:11], -1
                                        ; implicit-def: $sgpr28
	s_waitcnt lgkmcnt(0)
	s_bitcmp1_b32 s18, 0
	s_cselect_b64 s[0:1], -1, 0
	s_xor_b64 s[2:3], s[0:1], -1
	s_and_b64 vcc, exec, s[2:3]
	s_cbranch_vccnz .LBB85_4
; %bb.1:
	s_load_dwordx2 s[0:1], s[4:5], 0x58
	s_andn2_b64 vcc, exec, s[10:11]
	s_cbranch_vccz .LBB85_5
.LBB85_2:
	s_and_b64 vcc, exec, s[2:3]
	s_cbranch_vccz .LBB85_6
.LBB85_3:
	s_waitcnt lgkmcnt(0)
	s_load_dword s29, s[0:1], 0x0
	s_cbranch_execz .LBB85_7
	s_branch .LBB85_8
.LBB85_4:
	s_load_dword s28, s[8:9], 0x0
	s_load_dwordx2 s[0:1], s[4:5], 0x58
	s_cbranch_execnz .LBB85_2
.LBB85_5:
	s_waitcnt lgkmcnt(0)
	s_mov_b32 s28, s8
	s_and_b64 vcc, exec, s[2:3]
	s_cbranch_vccnz .LBB85_3
.LBB85_6:
                                        ; implicit-def: $sgpr29
.LBB85_7:
	s_waitcnt lgkmcnt(0)
	s_mov_b32 s29, s0
.LBB85_8:
	s_waitcnt lgkmcnt(0)
	s_cmp_eq_u32 s28, 0
	s_cselect_b64 s[0:1], -1, 0
	s_cmp_eq_u32 s29, 1
	s_cselect_b64 s[2:3], -1, 0
	s_and_b64 s[0:1], s[0:1], s[2:3]
	s_and_b64 vcc, exec, s[0:1]
	s_cbranch_vccnz .LBB85_34
; %bb.9:
	s_load_dword s0, s[4:5], 0x94
	s_load_dwordx4 s[20:23], s[4:5], 0x0
	s_waitcnt lgkmcnt(0)
	s_and_b32 s0, s0, 0xffff
	s_mul_i32 s6, s6, s0
	v_add_u32_e32 v1, s6, v0
	v_lshrrev_b32_e32 v2, 4, v1
	v_cmp_gt_i32_e32 vcc, s21, v2
	s_and_saveexec_b64 s[0:1], vcc
	s_cbranch_execz .LBB85_34
; %bb.10:
	s_cmp_lt_i32 s22, 1
	s_cbranch_scc1 .LBB85_34
; %bb.11:
	s_load_dwordx8 s[8:15], s[4:5], 0x28
	v_lshlrev_b32_e32 v2, 3, v2
	s_cmp_lg_u32 s29, 0
	v_and_b32_e32 v12, 7, v0
	v_lshrrev_b32_e32 v0, 3, v0
	s_waitcnt lgkmcnt(0)
	global_load_dwordx4 v[4:7], v2, s[8:9]
	s_load_dwordx4 s[24:27], s[4:5], 0x60
	s_load_dwordx2 s[6:7], s[4:5], 0x48
	s_cselect_b64 s[4:5], -1, 0
	s_cmp_lg_u32 s16, 1
	s_cselect_b64 s[8:9], -1, 0
	s_cmp_eq_u32 s20, 0
	v_lshlrev_b32_e32 v13, 5, v0
	v_mul_u32_u24_e32 v0, 24, v0
	s_cselect_b64 s[0:1], -1, 0
	v_lshrrev_b32_e32 v2, 3, v1
	v_bfe_u32 v1, v1, 3, 1
	v_mul_u32_u24_e32 v3, 3, v12
	v_or_b32_e32 v15, 0x100, v0
	v_cndmask_b32_e64 v0, 0, 1, s[0:1]
	v_add_u32_e32 v16, v15, v3
	v_lshlrev_b32_e32 v3, v0, v1
	s_and_b64 s[0:1], s[0:1], exec
	s_waitcnt lgkmcnt(0)
	v_mad_u64_u32 v[0:1], s[0:1], s26, v2, 0
	v_lshlrev_b32_e32 v8, 2, v2
	v_mov_b32_e32 v10, s25
	v_mad_u64_u32 v[1:2], s[0:1], s27, v2, v[1:2]
	v_add_co_u32_e32 v17, vcc, s24, v8
	v_addc_co_u32_e32 v18, vcc, 0, v10, vcc
	v_mov_b32_e32 v11, s13
	v_add_co_u32_e32 v19, vcc, s12, v3
	v_lshlrev_b64 v[0:1], 2, v[0:1]
	v_addc_co_u32_e32 v20, vcc, 0, v11, vcc
	v_mov_b32_e32 v9, s25
	v_add_co_u32_e32 v21, vcc, s24, v0
	v_addc_co_u32_e32 v22, vcc, v9, v1, vcc
	s_mov_b32 s23, 0
	s_mov_b32 s30, 0xc0c0400
	v_lshl_or_b32 v14, v12, 2, v13
	s_cselect_b32 s16, 1, 2
	s_mov_b32 s24, 0x4000c0c
	s_mov_b32 s25, 0xc0c0100
	s_waitcnt vmcnt(0)
	v_subrev_co_u32_e32 v0, vcc, s17, v4
	v_subbrev_co_u32_e32 v1, vcc, 0, v5, vcc
	v_subrev_co_u32_e32 v2, vcc, s17, v6
	v_cmp_lt_i64_e64 s[0:1], v[4:5], v[6:7]
	v_subbrev_co_u32_e32 v3, vcc, 0, v7, vcc
	s_branch .LBB85_13
.LBB85_12:                              ;   in Loop: Header=BB85_13 Depth=1
	s_or_b64 exec, exec, s[2:3]
	s_add_i32 s23, s23, 8
	s_cmp_lt_i32 s23, s22
	s_cbranch_scc0 .LBB85_34
.LBB85_13:                              ; =>This Loop Header: Depth=1
                                        ;     Child Loop BB85_16 Depth 2
                                        ;       Child Loop BB85_20 Depth 3
	v_or_b32_e32 v4, s23, v12
	v_ashrrev_i32_e32 v5, 31, v4
	v_mov_b32_e32 v23, 0
	s_and_saveexec_b64 s[12:13], s[0:1]
	s_cbranch_execz .LBB85_22
; %bb.14:                               ;   in Loop: Header=BB85_13 Depth=1
	v_mov_b32_e32 v7, s15
	v_add_co_u32_e64 v6, s[2:3], s14, v4
	v_mov_b32_e32 v9, v1
	v_cmp_gt_i32_e32 vcc, s22, v4
	v_addc_co_u32_e64 v7, s[2:3], v7, v5, s[2:3]
	v_mov_b32_e32 v23, 0
	s_mov_b64 s[18:19], 0
	v_mov_b32_e32 v8, v0
	s_branch .LBB85_16
.LBB85_15:                              ;   in Loop: Header=BB85_16 Depth=2
	s_or_b64 exec, exec, s[2:3]
	v_add_co_u32_e64 v8, s[2:3], 8, v8
	v_addc_co_u32_e64 v9, s[2:3], 0, v9, s[2:3]
	v_cmp_ge_i64_e64 s[2:3], v[8:9], v[2:3]
	s_or_b64 s[18:19], s[2:3], s[18:19]
	s_andn2_b64 exec, exec, s[18:19]
	s_cbranch_execz .LBB85_21
.LBB85_16:                              ;   Parent Loop BB85_13 Depth=1
                                        ; =>  This Loop Header: Depth=2
                                        ;       Child Loop BB85_20 Depth 3
	v_add_co_u32_e64 v10, s[2:3], v8, v12
	v_addc_co_u32_e64 v11, s[2:3], 0, v9, s[2:3]
	v_cmp_lt_i64_e64 s[2:3], v[10:11], v[2:3]
	v_mov_b32_e32 v26, 0
	v_mov_b32_e32 v24, 0
	;; [unrolled: 1-line block ×3, first 2 shown]
	s_and_saveexec_b64 s[20:21], s[2:3]
	s_cbranch_execz .LBB85_18
; %bb.17:                               ;   in Loop: Header=BB85_16 Depth=2
	v_lshlrev_b64 v[10:11], 2, v[10:11]
	v_mov_b32_e32 v25, s11
	v_add_co_u32_e64 v24, s[2:3], s10, v10
	v_addc_co_u32_e64 v25, s[2:3], v25, v11, s[2:3]
	v_add_co_u32_e64 v10, s[2:3], v19, v10
	global_load_dword v28, v[24:25], off
	v_addc_co_u32_e64 v11, s[2:3], v20, v11, s[2:3]
	v_add_co_u32_e64 v26, s[2:3], s16, v10
	v_addc_co_u32_e64 v27, s[2:3], 0, v11, s[2:3]
	global_load_ubyte v24, v[10:11], off
	global_load_ubyte v25, v[26:27], off
	s_waitcnt vmcnt(2)
	v_subrev_u32_e32 v10, s17, v28
	v_lshlrev_b32_e32 v26, 1, v10
.LBB85_18:                              ;   in Loop: Header=BB85_16 Depth=2
	s_or_b64 exec, exec, s[20:21]
	ds_write_b32 v14, v26
	s_waitcnt vmcnt(1)
	ds_write_b8 v16, v24
	s_waitcnt vmcnt(0)
	ds_write_b8 v16, v25 offset:1
	s_waitcnt lgkmcnt(0)
	; wave barrier
	s_and_saveexec_b64 s[2:3], vcc
	s_cbranch_execz .LBB85_15
; %bb.19:                               ;   in Loop: Header=BB85_16 Depth=2
	s_mov_b32 s20, 0
	v_mov_b32_e32 v10, v15
.LBB85_20:                              ;   Parent Loop BB85_13 Depth=1
                                        ;     Parent Loop BB85_16 Depth=2
                                        ; =>    This Inner Loop Header: Depth=3
	v_add_u32_e32 v11, s20, v13
	ds_read_b64 v[24:25], v11
	s_add_i32 s20, s20, 8
	s_cmp_lg_u32 s20, 32
	s_waitcnt lgkmcnt(0)
	v_ashrrev_i32_e32 v11, 31, v24
	v_mul_lo_u32 v11, s6, v11
	v_mul_lo_u32 v28, s7, v24
	v_mad_u64_u32 v[26:27], s[34:35], s6, v24, v[6:7]
	v_add_u32_e32 v24, 1, v24
	v_mul_lo_u32 v29, s7, v24
	v_add3_u32 v27, v28, v27, v11
	global_load_sbyte v11, v[26:27], off
	v_ashrrev_i32_e32 v26, 31, v24
	v_mul_lo_u32 v28, s6, v26
	v_mad_u64_u32 v[26:27], s[34:35], s6, v24, v[6:7]
	v_ashrrev_i32_e32 v24, 31, v25
	v_mul_lo_u32 v24, s6, v24
	v_add3_u32 v27, v29, v27, v28
	global_load_sbyte v28, v[26:27], off
	v_mul_lo_u32 v29, s7, v25
	v_mad_u64_u32 v[26:27], s[34:35], s6, v25, v[6:7]
	v_add3_u32 v27, v29, v27, v24
	v_add_u32_e32 v24, 1, v25
	v_ashrrev_i32_e32 v25, 31, v24
	global_load_sbyte v26, v[26:27], off
	v_mul_lo_u32 v27, s6, v25
	v_mul_lo_u32 v29, s7, v24
	v_mad_u64_u32 v[24:25], s[34:35], s6, v24, v[6:7]
	v_add3_u32 v25, v29, v25, v27
	global_load_sbyte v24, v[24:25], off
	ds_read_u16 v25, v10
	ds_read_i8 v27, v10 offset:3
	ds_read_i8 v29, v10 offset:4
	v_add_u32_e32 v10, 6, v10
	s_waitcnt vmcnt(2)
	v_perm_b32 v11, v28, v11, s30
	s_waitcnt vmcnt(0)
	v_perm_b32 v24, v24, v26, s24
	v_or_b32_e32 v11, v24, v11
	s_waitcnt lgkmcnt(2)
	v_perm_b32 v24, v25, v25, s25
	s_waitcnt lgkmcnt(0)
	v_perm_b32 v25, v29, v27, s24
	v_or_b32_e32 v24, v25, v24
	v_dot4_i32_i8 v23, v24, v11, v23
	s_cbranch_scc1 .LBB85_20
	s_branch .LBB85_15
.LBB85_21:                              ;   in Loop: Header=BB85_13 Depth=1
	s_or_b64 exec, exec, s[18:19]
.LBB85_22:                              ;   in Loop: Header=BB85_13 Depth=1
	s_or_b64 exec, exec, s[12:13]
	v_cmp_gt_i32_e32 vcc, s22, v4
	s_and_saveexec_b64 s[2:3], vcc
	s_cbranch_execz .LBB85_12
; %bb.23:                               ;   in Loop: Header=BB85_13 Depth=1
	s_mov_b64 s[12:13], -1
	s_and_b64 vcc, exec, s[4:5]
	s_cbranch_vccz .LBB85_29
; %bb.24:                               ;   in Loop: Header=BB85_13 Depth=1
	s_and_b64 vcc, exec, s[8:9]
	s_cbranch_vccz .LBB85_26
; %bb.25:                               ;   in Loop: Header=BB85_13 Depth=1
	v_lshlrev_b64 v[6:7], 2, v[4:5]
	v_mul_lo_u32 v8, v23, s28
	v_add_co_u32_e32 v6, vcc, v21, v6
	v_addc_co_u32_e32 v7, vcc, v22, v7, vcc
	global_load_dword v9, v[6:7], off
	s_waitcnt vmcnt(0)
	v_mad_u64_u32 v[8:9], s[12:13], v9, s29, v[8:9]
	s_mov_b64 s[12:13], 0
	global_store_dword v[6:7], v8, off
.LBB85_26:                              ;   in Loop: Header=BB85_13 Depth=1
	s_andn2_b64 vcc, exec, s[12:13]
	s_cbranch_vccnz .LBB85_28
; %bb.27:                               ;   in Loop: Header=BB85_13 Depth=1
	v_mul_lo_u32 v8, s27, v4
	v_mul_lo_u32 v9, s26, v5
	v_mad_u64_u32 v[6:7], s[12:13], s26, v4, 0
	v_add3_u32 v7, v7, v9, v8
	v_lshlrev_b64 v[6:7], 2, v[6:7]
	v_mul_lo_u32 v8, v23, s28
	v_add_co_u32_e32 v6, vcc, v17, v6
	v_addc_co_u32_e32 v7, vcc, v18, v7, vcc
	global_load_dword v9, v[6:7], off
	s_waitcnt vmcnt(0)
	v_mad_u64_u32 v[8:9], s[12:13], v9, s29, v[8:9]
	global_store_dword v[6:7], v8, off
.LBB85_28:                              ;   in Loop: Header=BB85_13 Depth=1
	s_mov_b64 s[12:13], 0
.LBB85_29:                              ;   in Loop: Header=BB85_13 Depth=1
	s_andn2_b64 vcc, exec, s[12:13]
	s_cbranch_vccnz .LBB85_12
; %bb.30:                               ;   in Loop: Header=BB85_13 Depth=1
	v_mul_lo_u32 v6, v23, s28
	s_mov_b64 s[12:13], -1
	s_and_b64 vcc, exec, s[8:9]
	s_cbranch_vccz .LBB85_32
; %bb.31:                               ;   in Loop: Header=BB85_13 Depth=1
	v_lshlrev_b64 v[7:8], 2, v[4:5]
	s_mov_b64 s[12:13], 0
	v_add_co_u32_e32 v7, vcc, v21, v7
	v_addc_co_u32_e32 v8, vcc, v22, v8, vcc
	global_store_dword v[7:8], v6, off
.LBB85_32:                              ;   in Loop: Header=BB85_13 Depth=1
	s_andn2_b64 vcc, exec, s[12:13]
	s_cbranch_vccnz .LBB85_12
; %bb.33:                               ;   in Loop: Header=BB85_13 Depth=1
	v_mul_lo_u32 v7, s27, v4
	v_mul_lo_u32 v8, s26, v5
	v_mad_u64_u32 v[4:5], s[12:13], s26, v4, 0
	v_add3_u32 v5, v5, v8, v7
	v_lshlrev_b64 v[4:5], 2, v[4:5]
	v_add_co_u32_e32 v4, vcc, v17, v4
	v_addc_co_u32_e32 v5, vcc, v18, v5, vcc
	global_store_dword v[4:5], v6, off
	s_branch .LBB85_12
.LBB85_34:
	s_endpgm
	.section	.rodata,"a",@progbits
	.p2align	6, 0x0
	.amdhsa_kernel _ZN9rocsparseL29bsrmmnt_small_blockdim_kernelILj64ELj8ELj2EliaaiiEEv20rocsparse_direction_T3_S2_llNS_24const_host_device_scalarIT7_EEPKT2_PKS2_PKT4_PKT5_llS5_PT6_ll16rocsparse_order_21rocsparse_index_base_b
		.amdhsa_group_segment_fixed_size 448
		.amdhsa_private_segment_fixed_size 0
		.amdhsa_kernarg_size 392
		.amdhsa_user_sgpr_count 6
		.amdhsa_user_sgpr_private_segment_buffer 1
		.amdhsa_user_sgpr_dispatch_ptr 0
		.amdhsa_user_sgpr_queue_ptr 0
		.amdhsa_user_sgpr_kernarg_segment_ptr 1
		.amdhsa_user_sgpr_dispatch_id 0
		.amdhsa_user_sgpr_flat_scratch_init 0
		.amdhsa_user_sgpr_private_segment_size 0
		.amdhsa_uses_dynamic_stack 0
		.amdhsa_system_sgpr_private_segment_wavefront_offset 0
		.amdhsa_system_sgpr_workgroup_id_x 1
		.amdhsa_system_sgpr_workgroup_id_y 0
		.amdhsa_system_sgpr_workgroup_id_z 0
		.amdhsa_system_sgpr_workgroup_info 0
		.amdhsa_system_vgpr_workitem_id 0
		.amdhsa_next_free_vgpr 30
		.amdhsa_next_free_sgpr 36
		.amdhsa_reserve_vcc 1
		.amdhsa_reserve_flat_scratch 0
		.amdhsa_float_round_mode_32 0
		.amdhsa_float_round_mode_16_64 0
		.amdhsa_float_denorm_mode_32 3
		.amdhsa_float_denorm_mode_16_64 3
		.amdhsa_dx10_clamp 1
		.amdhsa_ieee_mode 1
		.amdhsa_fp16_overflow 0
		.amdhsa_exception_fp_ieee_invalid_op 0
		.amdhsa_exception_fp_denorm_src 0
		.amdhsa_exception_fp_ieee_div_zero 0
		.amdhsa_exception_fp_ieee_overflow 0
		.amdhsa_exception_fp_ieee_underflow 0
		.amdhsa_exception_fp_ieee_inexact 0
		.amdhsa_exception_int_div_zero 0
	.end_amdhsa_kernel
	.section	.text._ZN9rocsparseL29bsrmmnt_small_blockdim_kernelILj64ELj8ELj2EliaaiiEEv20rocsparse_direction_T3_S2_llNS_24const_host_device_scalarIT7_EEPKT2_PKS2_PKT4_PKT5_llS5_PT6_ll16rocsparse_order_21rocsparse_index_base_b,"axG",@progbits,_ZN9rocsparseL29bsrmmnt_small_blockdim_kernelILj64ELj8ELj2EliaaiiEEv20rocsparse_direction_T3_S2_llNS_24const_host_device_scalarIT7_EEPKT2_PKS2_PKT4_PKT5_llS5_PT6_ll16rocsparse_order_21rocsparse_index_base_b,comdat
.Lfunc_end85:
	.size	_ZN9rocsparseL29bsrmmnt_small_blockdim_kernelILj64ELj8ELj2EliaaiiEEv20rocsparse_direction_T3_S2_llNS_24const_host_device_scalarIT7_EEPKT2_PKS2_PKT4_PKT5_llS5_PT6_ll16rocsparse_order_21rocsparse_index_base_b, .Lfunc_end85-_ZN9rocsparseL29bsrmmnt_small_blockdim_kernelILj64ELj8ELj2EliaaiiEEv20rocsparse_direction_T3_S2_llNS_24const_host_device_scalarIT7_EEPKT2_PKS2_PKT4_PKT5_llS5_PT6_ll16rocsparse_order_21rocsparse_index_base_b
                                        ; -- End function
	.set _ZN9rocsparseL29bsrmmnt_small_blockdim_kernelILj64ELj8ELj2EliaaiiEEv20rocsparse_direction_T3_S2_llNS_24const_host_device_scalarIT7_EEPKT2_PKS2_PKT4_PKT5_llS5_PT6_ll16rocsparse_order_21rocsparse_index_base_b.num_vgpr, 30
	.set _ZN9rocsparseL29bsrmmnt_small_blockdim_kernelILj64ELj8ELj2EliaaiiEEv20rocsparse_direction_T3_S2_llNS_24const_host_device_scalarIT7_EEPKT2_PKS2_PKT4_PKT5_llS5_PT6_ll16rocsparse_order_21rocsparse_index_base_b.num_agpr, 0
	.set _ZN9rocsparseL29bsrmmnt_small_blockdim_kernelILj64ELj8ELj2EliaaiiEEv20rocsparse_direction_T3_S2_llNS_24const_host_device_scalarIT7_EEPKT2_PKS2_PKT4_PKT5_llS5_PT6_ll16rocsparse_order_21rocsparse_index_base_b.numbered_sgpr, 36
	.set _ZN9rocsparseL29bsrmmnt_small_blockdim_kernelILj64ELj8ELj2EliaaiiEEv20rocsparse_direction_T3_S2_llNS_24const_host_device_scalarIT7_EEPKT2_PKS2_PKT4_PKT5_llS5_PT6_ll16rocsparse_order_21rocsparse_index_base_b.num_named_barrier, 0
	.set _ZN9rocsparseL29bsrmmnt_small_blockdim_kernelILj64ELj8ELj2EliaaiiEEv20rocsparse_direction_T3_S2_llNS_24const_host_device_scalarIT7_EEPKT2_PKS2_PKT4_PKT5_llS5_PT6_ll16rocsparse_order_21rocsparse_index_base_b.private_seg_size, 0
	.set _ZN9rocsparseL29bsrmmnt_small_blockdim_kernelILj64ELj8ELj2EliaaiiEEv20rocsparse_direction_T3_S2_llNS_24const_host_device_scalarIT7_EEPKT2_PKS2_PKT4_PKT5_llS5_PT6_ll16rocsparse_order_21rocsparse_index_base_b.uses_vcc, 1
	.set _ZN9rocsparseL29bsrmmnt_small_blockdim_kernelILj64ELj8ELj2EliaaiiEEv20rocsparse_direction_T3_S2_llNS_24const_host_device_scalarIT7_EEPKT2_PKS2_PKT4_PKT5_llS5_PT6_ll16rocsparse_order_21rocsparse_index_base_b.uses_flat_scratch, 0
	.set _ZN9rocsparseL29bsrmmnt_small_blockdim_kernelILj64ELj8ELj2EliaaiiEEv20rocsparse_direction_T3_S2_llNS_24const_host_device_scalarIT7_EEPKT2_PKS2_PKT4_PKT5_llS5_PT6_ll16rocsparse_order_21rocsparse_index_base_b.has_dyn_sized_stack, 0
	.set _ZN9rocsparseL29bsrmmnt_small_blockdim_kernelILj64ELj8ELj2EliaaiiEEv20rocsparse_direction_T3_S2_llNS_24const_host_device_scalarIT7_EEPKT2_PKS2_PKT4_PKT5_llS5_PT6_ll16rocsparse_order_21rocsparse_index_base_b.has_recursion, 0
	.set _ZN9rocsparseL29bsrmmnt_small_blockdim_kernelILj64ELj8ELj2EliaaiiEEv20rocsparse_direction_T3_S2_llNS_24const_host_device_scalarIT7_EEPKT2_PKS2_PKT4_PKT5_llS5_PT6_ll16rocsparse_order_21rocsparse_index_base_b.has_indirect_call, 0
	.section	.AMDGPU.csdata,"",@progbits
; Kernel info:
; codeLenInByte = 1432
; TotalNumSgprs: 40
; NumVgprs: 30
; ScratchSize: 0
; MemoryBound: 0
; FloatMode: 240
; IeeeMode: 1
; LDSByteSize: 448 bytes/workgroup (compile time only)
; SGPRBlocks: 4
; VGPRBlocks: 7
; NumSGPRsForWavesPerEU: 40
; NumVGPRsForWavesPerEU: 30
; Occupancy: 8
; WaveLimiterHint : 0
; COMPUTE_PGM_RSRC2:SCRATCH_EN: 0
; COMPUTE_PGM_RSRC2:USER_SGPR: 6
; COMPUTE_PGM_RSRC2:TRAP_HANDLER: 0
; COMPUTE_PGM_RSRC2:TGID_X_EN: 1
; COMPUTE_PGM_RSRC2:TGID_Y_EN: 0
; COMPUTE_PGM_RSRC2:TGID_Z_EN: 0
; COMPUTE_PGM_RSRC2:TIDIG_COMP_CNT: 0
	.section	.text._ZN9rocsparseL29bsrmmnt_small_blockdim_kernelILj64ELj16ELj2EliaaiiEEv20rocsparse_direction_T3_S2_llNS_24const_host_device_scalarIT7_EEPKT2_PKS2_PKT4_PKT5_llS5_PT6_ll16rocsparse_order_21rocsparse_index_base_b,"axG",@progbits,_ZN9rocsparseL29bsrmmnt_small_blockdim_kernelILj64ELj16ELj2EliaaiiEEv20rocsparse_direction_T3_S2_llNS_24const_host_device_scalarIT7_EEPKT2_PKS2_PKT4_PKT5_llS5_PT6_ll16rocsparse_order_21rocsparse_index_base_b,comdat
	.globl	_ZN9rocsparseL29bsrmmnt_small_blockdim_kernelILj64ELj16ELj2EliaaiiEEv20rocsparse_direction_T3_S2_llNS_24const_host_device_scalarIT7_EEPKT2_PKS2_PKT4_PKT5_llS5_PT6_ll16rocsparse_order_21rocsparse_index_base_b ; -- Begin function _ZN9rocsparseL29bsrmmnt_small_blockdim_kernelILj64ELj16ELj2EliaaiiEEv20rocsparse_direction_T3_S2_llNS_24const_host_device_scalarIT7_EEPKT2_PKS2_PKT4_PKT5_llS5_PT6_ll16rocsparse_order_21rocsparse_index_base_b
	.p2align	8
	.type	_ZN9rocsparseL29bsrmmnt_small_blockdim_kernelILj64ELj16ELj2EliaaiiEEv20rocsparse_direction_T3_S2_llNS_24const_host_device_scalarIT7_EEPKT2_PKS2_PKT4_PKT5_llS5_PT6_ll16rocsparse_order_21rocsparse_index_base_b,@function
_ZN9rocsparseL29bsrmmnt_small_blockdim_kernelILj64ELj16ELj2EliaaiiEEv20rocsparse_direction_T3_S2_llNS_24const_host_device_scalarIT7_EEPKT2_PKS2_PKT4_PKT5_llS5_PT6_ll16rocsparse_order_21rocsparse_index_base_b: ; @_ZN9rocsparseL29bsrmmnt_small_blockdim_kernelILj64ELj16ELj2EliaaiiEEv20rocsparse_direction_T3_S2_llNS_24const_host_device_scalarIT7_EEPKT2_PKS2_PKT4_PKT5_llS5_PT6_ll16rocsparse_order_21rocsparse_index_base_b
; %bb.0:
	s_load_dwordx4 s[16:19], s[4:5], 0x78
	s_load_dwordx2 s[8:9], s[4:5], 0x20
	s_mov_b64 s[10:11], -1
                                        ; implicit-def: $sgpr28
	s_waitcnt lgkmcnt(0)
	s_bitcmp1_b32 s18, 0
	s_cselect_b64 s[0:1], -1, 0
	s_xor_b64 s[2:3], s[0:1], -1
	s_and_b64 vcc, exec, s[2:3]
	s_cbranch_vccnz .LBB86_4
; %bb.1:
	s_load_dwordx2 s[0:1], s[4:5], 0x58
	s_andn2_b64 vcc, exec, s[10:11]
	s_cbranch_vccz .LBB86_5
.LBB86_2:
	s_and_b64 vcc, exec, s[2:3]
	s_cbranch_vccz .LBB86_6
.LBB86_3:
	s_waitcnt lgkmcnt(0)
	s_load_dword s29, s[0:1], 0x0
	s_cbranch_execz .LBB86_7
	s_branch .LBB86_8
.LBB86_4:
	s_load_dword s28, s[8:9], 0x0
	s_load_dwordx2 s[0:1], s[4:5], 0x58
	s_cbranch_execnz .LBB86_2
.LBB86_5:
	s_waitcnt lgkmcnt(0)
	s_mov_b32 s28, s8
	s_and_b64 vcc, exec, s[2:3]
	s_cbranch_vccnz .LBB86_3
.LBB86_6:
                                        ; implicit-def: $sgpr29
.LBB86_7:
	s_waitcnt lgkmcnt(0)
	s_mov_b32 s29, s0
.LBB86_8:
	s_waitcnt lgkmcnt(0)
	s_cmp_eq_u32 s28, 0
	s_cselect_b64 s[0:1], -1, 0
	s_cmp_eq_u32 s29, 1
	s_cselect_b64 s[2:3], -1, 0
	s_and_b64 s[0:1], s[0:1], s[2:3]
	s_and_b64 vcc, exec, s[0:1]
	s_cbranch_vccnz .LBB86_34
; %bb.9:
	s_load_dword s0, s[4:5], 0x94
	s_load_dwordx4 s[20:23], s[4:5], 0x0
	s_waitcnt lgkmcnt(0)
	s_and_b32 s0, s0, 0xffff
	s_mul_i32 s6, s6, s0
	v_add_u32_e32 v1, s6, v0
	v_lshrrev_b32_e32 v2, 5, v1
	v_cmp_gt_i32_e32 vcc, s21, v2
	s_and_saveexec_b64 s[0:1], vcc
	s_cbranch_execz .LBB86_34
; %bb.10:
	s_cmp_lt_i32 s22, 1
	s_cbranch_scc1 .LBB86_34
; %bb.11:
	s_load_dwordx8 s[8:15], s[4:5], 0x28
	v_lshlrev_b32_e32 v2, 3, v2
	s_cmp_lg_u32 s29, 0
	v_and_b32_e32 v12, 15, v0
	v_lshrrev_b32_e32 v0, 4, v0
	s_waitcnt lgkmcnt(0)
	global_load_dwordx4 v[4:7], v2, s[8:9]
	s_load_dwordx4 s[24:27], s[4:5], 0x60
	s_load_dwordx2 s[6:7], s[4:5], 0x48
	s_cselect_b64 s[4:5], -1, 0
	s_cmp_lg_u32 s16, 1
	s_cselect_b64 s[8:9], -1, 0
	s_cmp_eq_u32 s20, 0
	v_lshlrev_b32_e32 v13, 6, v0
	v_mul_u32_u24_e32 v0, 48, v0
	s_cselect_b64 s[0:1], -1, 0
	v_lshrrev_b32_e32 v2, 4, v1
	v_bfe_u32 v1, v1, 4, 1
	v_mul_u32_u24_e32 v3, 3, v12
	v_or_b32_e32 v15, 0x100, v0
	v_cndmask_b32_e64 v0, 0, 1, s[0:1]
	v_add_u32_e32 v16, v15, v3
	v_lshlrev_b32_e32 v3, v0, v1
	s_and_b64 s[0:1], s[0:1], exec
	s_waitcnt lgkmcnt(0)
	v_mad_u64_u32 v[0:1], s[0:1], s26, v2, 0
	v_lshlrev_b32_e32 v8, 2, v2
	v_mov_b32_e32 v10, s25
	v_mad_u64_u32 v[1:2], s[0:1], s27, v2, v[1:2]
	v_add_co_u32_e32 v17, vcc, s24, v8
	v_addc_co_u32_e32 v18, vcc, 0, v10, vcc
	v_mov_b32_e32 v11, s13
	v_add_co_u32_e32 v19, vcc, s12, v3
	v_lshlrev_b64 v[0:1], 2, v[0:1]
	v_addc_co_u32_e32 v20, vcc, 0, v11, vcc
	v_mov_b32_e32 v9, s25
	v_add_co_u32_e32 v21, vcc, s24, v0
	v_addc_co_u32_e32 v22, vcc, v9, v1, vcc
	s_mov_b32 s23, 0
	s_mov_b32 s30, 0xc0c0400
	v_lshl_or_b32 v14, v12, 2, v13
	s_cselect_b32 s16, 1, 2
	s_mov_b32 s24, 0x4000c0c
	s_mov_b32 s25, 0xc0c0100
	s_waitcnt vmcnt(0)
	v_subrev_co_u32_e32 v0, vcc, s17, v4
	v_subbrev_co_u32_e32 v1, vcc, 0, v5, vcc
	v_subrev_co_u32_e32 v2, vcc, s17, v6
	v_cmp_lt_i64_e64 s[0:1], v[4:5], v[6:7]
	v_subbrev_co_u32_e32 v3, vcc, 0, v7, vcc
	s_branch .LBB86_13
.LBB86_12:                              ;   in Loop: Header=BB86_13 Depth=1
	s_or_b64 exec, exec, s[2:3]
	s_add_i32 s23, s23, 16
	s_cmp_lt_i32 s23, s22
	s_cbranch_scc0 .LBB86_34
.LBB86_13:                              ; =>This Loop Header: Depth=1
                                        ;     Child Loop BB86_16 Depth 2
                                        ;       Child Loop BB86_20 Depth 3
	v_or_b32_e32 v4, s23, v12
	v_ashrrev_i32_e32 v5, 31, v4
	v_mov_b32_e32 v23, 0
	s_and_saveexec_b64 s[12:13], s[0:1]
	s_cbranch_execz .LBB86_22
; %bb.14:                               ;   in Loop: Header=BB86_13 Depth=1
	v_mov_b32_e32 v7, s15
	v_add_co_u32_e64 v6, s[2:3], s14, v4
	v_mov_b32_e32 v9, v1
	v_cmp_gt_i32_e32 vcc, s22, v4
	v_addc_co_u32_e64 v7, s[2:3], v7, v5, s[2:3]
	v_mov_b32_e32 v23, 0
	s_mov_b64 s[18:19], 0
	v_mov_b32_e32 v8, v0
	s_branch .LBB86_16
.LBB86_15:                              ;   in Loop: Header=BB86_16 Depth=2
	s_or_b64 exec, exec, s[2:3]
	v_add_co_u32_e64 v8, s[2:3], 16, v8
	v_addc_co_u32_e64 v9, s[2:3], 0, v9, s[2:3]
	v_cmp_ge_i64_e64 s[2:3], v[8:9], v[2:3]
	s_or_b64 s[18:19], s[2:3], s[18:19]
	s_andn2_b64 exec, exec, s[18:19]
	s_cbranch_execz .LBB86_21
.LBB86_16:                              ;   Parent Loop BB86_13 Depth=1
                                        ; =>  This Loop Header: Depth=2
                                        ;       Child Loop BB86_20 Depth 3
	v_add_co_u32_e64 v10, s[2:3], v8, v12
	v_addc_co_u32_e64 v11, s[2:3], 0, v9, s[2:3]
	v_cmp_lt_i64_e64 s[2:3], v[10:11], v[2:3]
	v_mov_b32_e32 v26, 0
	v_mov_b32_e32 v24, 0
	;; [unrolled: 1-line block ×3, first 2 shown]
	s_and_saveexec_b64 s[20:21], s[2:3]
	s_cbranch_execz .LBB86_18
; %bb.17:                               ;   in Loop: Header=BB86_16 Depth=2
	v_lshlrev_b64 v[10:11], 2, v[10:11]
	v_mov_b32_e32 v25, s11
	v_add_co_u32_e64 v24, s[2:3], s10, v10
	v_addc_co_u32_e64 v25, s[2:3], v25, v11, s[2:3]
	v_add_co_u32_e64 v10, s[2:3], v19, v10
	global_load_dword v28, v[24:25], off
	v_addc_co_u32_e64 v11, s[2:3], v20, v11, s[2:3]
	v_add_co_u32_e64 v26, s[2:3], s16, v10
	v_addc_co_u32_e64 v27, s[2:3], 0, v11, s[2:3]
	global_load_ubyte v24, v[10:11], off
	global_load_ubyte v25, v[26:27], off
	s_waitcnt vmcnt(2)
	v_subrev_u32_e32 v10, s17, v28
	v_lshlrev_b32_e32 v26, 1, v10
.LBB86_18:                              ;   in Loop: Header=BB86_16 Depth=2
	s_or_b64 exec, exec, s[20:21]
	ds_write_b32 v14, v26
	s_waitcnt vmcnt(1)
	ds_write_b8 v16, v24
	s_waitcnt vmcnt(0)
	ds_write_b8 v16, v25 offset:1
	s_waitcnt lgkmcnt(0)
	; wave barrier
	s_and_saveexec_b64 s[2:3], vcc
	s_cbranch_execz .LBB86_15
; %bb.19:                               ;   in Loop: Header=BB86_16 Depth=2
	s_mov_b32 s20, 0
	v_mov_b32_e32 v10, v15
.LBB86_20:                              ;   Parent Loop BB86_13 Depth=1
                                        ;     Parent Loop BB86_16 Depth=2
                                        ; =>    This Inner Loop Header: Depth=3
	v_add_u32_e32 v11, s20, v13
	ds_read_b64 v[24:25], v11
	s_add_i32 s20, s20, 8
	s_cmp_lg_u32 s20, 64
	s_waitcnt lgkmcnt(0)
	v_ashrrev_i32_e32 v11, 31, v24
	v_mul_lo_u32 v11, s6, v11
	v_mul_lo_u32 v28, s7, v24
	v_mad_u64_u32 v[26:27], s[34:35], s6, v24, v[6:7]
	v_add_u32_e32 v24, 1, v24
	v_mul_lo_u32 v29, s7, v24
	v_add3_u32 v27, v28, v27, v11
	global_load_sbyte v11, v[26:27], off
	v_ashrrev_i32_e32 v26, 31, v24
	v_mul_lo_u32 v28, s6, v26
	v_mad_u64_u32 v[26:27], s[34:35], s6, v24, v[6:7]
	v_ashrrev_i32_e32 v24, 31, v25
	v_mul_lo_u32 v24, s6, v24
	v_add3_u32 v27, v29, v27, v28
	global_load_sbyte v28, v[26:27], off
	v_mul_lo_u32 v29, s7, v25
	v_mad_u64_u32 v[26:27], s[34:35], s6, v25, v[6:7]
	v_add3_u32 v27, v29, v27, v24
	v_add_u32_e32 v24, 1, v25
	v_ashrrev_i32_e32 v25, 31, v24
	global_load_sbyte v26, v[26:27], off
	v_mul_lo_u32 v27, s6, v25
	v_mul_lo_u32 v29, s7, v24
	v_mad_u64_u32 v[24:25], s[34:35], s6, v24, v[6:7]
	v_add3_u32 v25, v29, v25, v27
	global_load_sbyte v24, v[24:25], off
	ds_read_u16 v25, v10
	ds_read_i8 v27, v10 offset:3
	ds_read_i8 v29, v10 offset:4
	v_add_u32_e32 v10, 6, v10
	s_waitcnt vmcnt(2)
	v_perm_b32 v11, v28, v11, s30
	s_waitcnt vmcnt(0)
	v_perm_b32 v24, v24, v26, s24
	v_or_b32_e32 v11, v24, v11
	s_waitcnt lgkmcnt(2)
	v_perm_b32 v24, v25, v25, s25
	s_waitcnt lgkmcnt(0)
	v_perm_b32 v25, v29, v27, s24
	v_or_b32_e32 v24, v25, v24
	v_dot4_i32_i8 v23, v24, v11, v23
	s_cbranch_scc1 .LBB86_20
	s_branch .LBB86_15
.LBB86_21:                              ;   in Loop: Header=BB86_13 Depth=1
	s_or_b64 exec, exec, s[18:19]
.LBB86_22:                              ;   in Loop: Header=BB86_13 Depth=1
	s_or_b64 exec, exec, s[12:13]
	v_cmp_gt_i32_e32 vcc, s22, v4
	s_and_saveexec_b64 s[2:3], vcc
	s_cbranch_execz .LBB86_12
; %bb.23:                               ;   in Loop: Header=BB86_13 Depth=1
	s_mov_b64 s[12:13], -1
	s_and_b64 vcc, exec, s[4:5]
	s_cbranch_vccz .LBB86_29
; %bb.24:                               ;   in Loop: Header=BB86_13 Depth=1
	s_and_b64 vcc, exec, s[8:9]
	s_cbranch_vccz .LBB86_26
; %bb.25:                               ;   in Loop: Header=BB86_13 Depth=1
	v_lshlrev_b64 v[6:7], 2, v[4:5]
	v_mul_lo_u32 v8, v23, s28
	v_add_co_u32_e32 v6, vcc, v21, v6
	v_addc_co_u32_e32 v7, vcc, v22, v7, vcc
	global_load_dword v9, v[6:7], off
	s_waitcnt vmcnt(0)
	v_mad_u64_u32 v[8:9], s[12:13], v9, s29, v[8:9]
	s_mov_b64 s[12:13], 0
	global_store_dword v[6:7], v8, off
.LBB86_26:                              ;   in Loop: Header=BB86_13 Depth=1
	s_andn2_b64 vcc, exec, s[12:13]
	s_cbranch_vccnz .LBB86_28
; %bb.27:                               ;   in Loop: Header=BB86_13 Depth=1
	v_mul_lo_u32 v8, s27, v4
	v_mul_lo_u32 v9, s26, v5
	v_mad_u64_u32 v[6:7], s[12:13], s26, v4, 0
	v_add3_u32 v7, v7, v9, v8
	v_lshlrev_b64 v[6:7], 2, v[6:7]
	v_mul_lo_u32 v8, v23, s28
	v_add_co_u32_e32 v6, vcc, v17, v6
	v_addc_co_u32_e32 v7, vcc, v18, v7, vcc
	global_load_dword v9, v[6:7], off
	s_waitcnt vmcnt(0)
	v_mad_u64_u32 v[8:9], s[12:13], v9, s29, v[8:9]
	global_store_dword v[6:7], v8, off
.LBB86_28:                              ;   in Loop: Header=BB86_13 Depth=1
	s_mov_b64 s[12:13], 0
.LBB86_29:                              ;   in Loop: Header=BB86_13 Depth=1
	s_andn2_b64 vcc, exec, s[12:13]
	s_cbranch_vccnz .LBB86_12
; %bb.30:                               ;   in Loop: Header=BB86_13 Depth=1
	v_mul_lo_u32 v6, v23, s28
	s_mov_b64 s[12:13], -1
	s_and_b64 vcc, exec, s[8:9]
	s_cbranch_vccz .LBB86_32
; %bb.31:                               ;   in Loop: Header=BB86_13 Depth=1
	v_lshlrev_b64 v[7:8], 2, v[4:5]
	s_mov_b64 s[12:13], 0
	v_add_co_u32_e32 v7, vcc, v21, v7
	v_addc_co_u32_e32 v8, vcc, v22, v8, vcc
	global_store_dword v[7:8], v6, off
.LBB86_32:                              ;   in Loop: Header=BB86_13 Depth=1
	s_andn2_b64 vcc, exec, s[12:13]
	s_cbranch_vccnz .LBB86_12
; %bb.33:                               ;   in Loop: Header=BB86_13 Depth=1
	v_mul_lo_u32 v7, s27, v4
	v_mul_lo_u32 v8, s26, v5
	v_mad_u64_u32 v[4:5], s[12:13], s26, v4, 0
	v_add3_u32 v5, v5, v8, v7
	v_lshlrev_b64 v[4:5], 2, v[4:5]
	v_add_co_u32_e32 v4, vcc, v17, v4
	v_addc_co_u32_e32 v5, vcc, v18, v5, vcc
	global_store_dword v[4:5], v6, off
	s_branch .LBB86_12
.LBB86_34:
	s_endpgm
	.section	.rodata,"a",@progbits
	.p2align	6, 0x0
	.amdhsa_kernel _ZN9rocsparseL29bsrmmnt_small_blockdim_kernelILj64ELj16ELj2EliaaiiEEv20rocsparse_direction_T3_S2_llNS_24const_host_device_scalarIT7_EEPKT2_PKS2_PKT4_PKT5_llS5_PT6_ll16rocsparse_order_21rocsparse_index_base_b
		.amdhsa_group_segment_fixed_size 448
		.amdhsa_private_segment_fixed_size 0
		.amdhsa_kernarg_size 392
		.amdhsa_user_sgpr_count 6
		.amdhsa_user_sgpr_private_segment_buffer 1
		.amdhsa_user_sgpr_dispatch_ptr 0
		.amdhsa_user_sgpr_queue_ptr 0
		.amdhsa_user_sgpr_kernarg_segment_ptr 1
		.amdhsa_user_sgpr_dispatch_id 0
		.amdhsa_user_sgpr_flat_scratch_init 0
		.amdhsa_user_sgpr_private_segment_size 0
		.amdhsa_uses_dynamic_stack 0
		.amdhsa_system_sgpr_private_segment_wavefront_offset 0
		.amdhsa_system_sgpr_workgroup_id_x 1
		.amdhsa_system_sgpr_workgroup_id_y 0
		.amdhsa_system_sgpr_workgroup_id_z 0
		.amdhsa_system_sgpr_workgroup_info 0
		.amdhsa_system_vgpr_workitem_id 0
		.amdhsa_next_free_vgpr 30
		.amdhsa_next_free_sgpr 36
		.amdhsa_reserve_vcc 1
		.amdhsa_reserve_flat_scratch 0
		.amdhsa_float_round_mode_32 0
		.amdhsa_float_round_mode_16_64 0
		.amdhsa_float_denorm_mode_32 3
		.amdhsa_float_denorm_mode_16_64 3
		.amdhsa_dx10_clamp 1
		.amdhsa_ieee_mode 1
		.amdhsa_fp16_overflow 0
		.amdhsa_exception_fp_ieee_invalid_op 0
		.amdhsa_exception_fp_denorm_src 0
		.amdhsa_exception_fp_ieee_div_zero 0
		.amdhsa_exception_fp_ieee_overflow 0
		.amdhsa_exception_fp_ieee_underflow 0
		.amdhsa_exception_fp_ieee_inexact 0
		.amdhsa_exception_int_div_zero 0
	.end_amdhsa_kernel
	.section	.text._ZN9rocsparseL29bsrmmnt_small_blockdim_kernelILj64ELj16ELj2EliaaiiEEv20rocsparse_direction_T3_S2_llNS_24const_host_device_scalarIT7_EEPKT2_PKS2_PKT4_PKT5_llS5_PT6_ll16rocsparse_order_21rocsparse_index_base_b,"axG",@progbits,_ZN9rocsparseL29bsrmmnt_small_blockdim_kernelILj64ELj16ELj2EliaaiiEEv20rocsparse_direction_T3_S2_llNS_24const_host_device_scalarIT7_EEPKT2_PKS2_PKT4_PKT5_llS5_PT6_ll16rocsparse_order_21rocsparse_index_base_b,comdat
.Lfunc_end86:
	.size	_ZN9rocsparseL29bsrmmnt_small_blockdim_kernelILj64ELj16ELj2EliaaiiEEv20rocsparse_direction_T3_S2_llNS_24const_host_device_scalarIT7_EEPKT2_PKS2_PKT4_PKT5_llS5_PT6_ll16rocsparse_order_21rocsparse_index_base_b, .Lfunc_end86-_ZN9rocsparseL29bsrmmnt_small_blockdim_kernelILj64ELj16ELj2EliaaiiEEv20rocsparse_direction_T3_S2_llNS_24const_host_device_scalarIT7_EEPKT2_PKS2_PKT4_PKT5_llS5_PT6_ll16rocsparse_order_21rocsparse_index_base_b
                                        ; -- End function
	.set _ZN9rocsparseL29bsrmmnt_small_blockdim_kernelILj64ELj16ELj2EliaaiiEEv20rocsparse_direction_T3_S2_llNS_24const_host_device_scalarIT7_EEPKT2_PKS2_PKT4_PKT5_llS5_PT6_ll16rocsparse_order_21rocsparse_index_base_b.num_vgpr, 30
	.set _ZN9rocsparseL29bsrmmnt_small_blockdim_kernelILj64ELj16ELj2EliaaiiEEv20rocsparse_direction_T3_S2_llNS_24const_host_device_scalarIT7_EEPKT2_PKS2_PKT4_PKT5_llS5_PT6_ll16rocsparse_order_21rocsparse_index_base_b.num_agpr, 0
	.set _ZN9rocsparseL29bsrmmnt_small_blockdim_kernelILj64ELj16ELj2EliaaiiEEv20rocsparse_direction_T3_S2_llNS_24const_host_device_scalarIT7_EEPKT2_PKS2_PKT4_PKT5_llS5_PT6_ll16rocsparse_order_21rocsparse_index_base_b.numbered_sgpr, 36
	.set _ZN9rocsparseL29bsrmmnt_small_blockdim_kernelILj64ELj16ELj2EliaaiiEEv20rocsparse_direction_T3_S2_llNS_24const_host_device_scalarIT7_EEPKT2_PKS2_PKT4_PKT5_llS5_PT6_ll16rocsparse_order_21rocsparse_index_base_b.num_named_barrier, 0
	.set _ZN9rocsparseL29bsrmmnt_small_blockdim_kernelILj64ELj16ELj2EliaaiiEEv20rocsparse_direction_T3_S2_llNS_24const_host_device_scalarIT7_EEPKT2_PKS2_PKT4_PKT5_llS5_PT6_ll16rocsparse_order_21rocsparse_index_base_b.private_seg_size, 0
	.set _ZN9rocsparseL29bsrmmnt_small_blockdim_kernelILj64ELj16ELj2EliaaiiEEv20rocsparse_direction_T3_S2_llNS_24const_host_device_scalarIT7_EEPKT2_PKS2_PKT4_PKT5_llS5_PT6_ll16rocsparse_order_21rocsparse_index_base_b.uses_vcc, 1
	.set _ZN9rocsparseL29bsrmmnt_small_blockdim_kernelILj64ELj16ELj2EliaaiiEEv20rocsparse_direction_T3_S2_llNS_24const_host_device_scalarIT7_EEPKT2_PKS2_PKT4_PKT5_llS5_PT6_ll16rocsparse_order_21rocsparse_index_base_b.uses_flat_scratch, 0
	.set _ZN9rocsparseL29bsrmmnt_small_blockdim_kernelILj64ELj16ELj2EliaaiiEEv20rocsparse_direction_T3_S2_llNS_24const_host_device_scalarIT7_EEPKT2_PKS2_PKT4_PKT5_llS5_PT6_ll16rocsparse_order_21rocsparse_index_base_b.has_dyn_sized_stack, 0
	.set _ZN9rocsparseL29bsrmmnt_small_blockdim_kernelILj64ELj16ELj2EliaaiiEEv20rocsparse_direction_T3_S2_llNS_24const_host_device_scalarIT7_EEPKT2_PKS2_PKT4_PKT5_llS5_PT6_ll16rocsparse_order_21rocsparse_index_base_b.has_recursion, 0
	.set _ZN9rocsparseL29bsrmmnt_small_blockdim_kernelILj64ELj16ELj2EliaaiiEEv20rocsparse_direction_T3_S2_llNS_24const_host_device_scalarIT7_EEPKT2_PKS2_PKT4_PKT5_llS5_PT6_ll16rocsparse_order_21rocsparse_index_base_b.has_indirect_call, 0
	.section	.AMDGPU.csdata,"",@progbits
; Kernel info:
; codeLenInByte = 1432
; TotalNumSgprs: 40
; NumVgprs: 30
; ScratchSize: 0
; MemoryBound: 0
; FloatMode: 240
; IeeeMode: 1
; LDSByteSize: 448 bytes/workgroup (compile time only)
; SGPRBlocks: 4
; VGPRBlocks: 7
; NumSGPRsForWavesPerEU: 40
; NumVGPRsForWavesPerEU: 30
; Occupancy: 8
; WaveLimiterHint : 0
; COMPUTE_PGM_RSRC2:SCRATCH_EN: 0
; COMPUTE_PGM_RSRC2:USER_SGPR: 6
; COMPUTE_PGM_RSRC2:TRAP_HANDLER: 0
; COMPUTE_PGM_RSRC2:TGID_X_EN: 1
; COMPUTE_PGM_RSRC2:TGID_Y_EN: 0
; COMPUTE_PGM_RSRC2:TGID_Z_EN: 0
; COMPUTE_PGM_RSRC2:TIDIG_COMP_CNT: 0
	.section	.text._ZN9rocsparseL29bsrmmnt_small_blockdim_kernelILj64ELj32ELj2EliaaiiEEv20rocsparse_direction_T3_S2_llNS_24const_host_device_scalarIT7_EEPKT2_PKS2_PKT4_PKT5_llS5_PT6_ll16rocsparse_order_21rocsparse_index_base_b,"axG",@progbits,_ZN9rocsparseL29bsrmmnt_small_blockdim_kernelILj64ELj32ELj2EliaaiiEEv20rocsparse_direction_T3_S2_llNS_24const_host_device_scalarIT7_EEPKT2_PKS2_PKT4_PKT5_llS5_PT6_ll16rocsparse_order_21rocsparse_index_base_b,comdat
	.globl	_ZN9rocsparseL29bsrmmnt_small_blockdim_kernelILj64ELj32ELj2EliaaiiEEv20rocsparse_direction_T3_S2_llNS_24const_host_device_scalarIT7_EEPKT2_PKS2_PKT4_PKT5_llS5_PT6_ll16rocsparse_order_21rocsparse_index_base_b ; -- Begin function _ZN9rocsparseL29bsrmmnt_small_blockdim_kernelILj64ELj32ELj2EliaaiiEEv20rocsparse_direction_T3_S2_llNS_24const_host_device_scalarIT7_EEPKT2_PKS2_PKT4_PKT5_llS5_PT6_ll16rocsparse_order_21rocsparse_index_base_b
	.p2align	8
	.type	_ZN9rocsparseL29bsrmmnt_small_blockdim_kernelILj64ELj32ELj2EliaaiiEEv20rocsparse_direction_T3_S2_llNS_24const_host_device_scalarIT7_EEPKT2_PKS2_PKT4_PKT5_llS5_PT6_ll16rocsparse_order_21rocsparse_index_base_b,@function
_ZN9rocsparseL29bsrmmnt_small_blockdim_kernelILj64ELj32ELj2EliaaiiEEv20rocsparse_direction_T3_S2_llNS_24const_host_device_scalarIT7_EEPKT2_PKS2_PKT4_PKT5_llS5_PT6_ll16rocsparse_order_21rocsparse_index_base_b: ; @_ZN9rocsparseL29bsrmmnt_small_blockdim_kernelILj64ELj32ELj2EliaaiiEEv20rocsparse_direction_T3_S2_llNS_24const_host_device_scalarIT7_EEPKT2_PKS2_PKT4_PKT5_llS5_PT6_ll16rocsparse_order_21rocsparse_index_base_b
; %bb.0:
	s_load_dwordx4 s[16:19], s[4:5], 0x78
	s_load_dwordx2 s[8:9], s[4:5], 0x20
	s_mov_b64 s[10:11], -1
                                        ; implicit-def: $sgpr28
	s_waitcnt lgkmcnt(0)
	s_bitcmp1_b32 s18, 0
	s_cselect_b64 s[0:1], -1, 0
	s_xor_b64 s[2:3], s[0:1], -1
	s_and_b64 vcc, exec, s[2:3]
	s_cbranch_vccnz .LBB87_4
; %bb.1:
	s_load_dwordx2 s[0:1], s[4:5], 0x58
	s_andn2_b64 vcc, exec, s[10:11]
	s_cbranch_vccz .LBB87_5
.LBB87_2:
	s_and_b64 vcc, exec, s[2:3]
	s_cbranch_vccz .LBB87_6
.LBB87_3:
	s_waitcnt lgkmcnt(0)
	s_load_dword s29, s[0:1], 0x0
	s_cbranch_execz .LBB87_7
	s_branch .LBB87_8
.LBB87_4:
	s_load_dword s28, s[8:9], 0x0
	s_load_dwordx2 s[0:1], s[4:5], 0x58
	s_cbranch_execnz .LBB87_2
.LBB87_5:
	s_waitcnt lgkmcnt(0)
	s_mov_b32 s28, s8
	s_and_b64 vcc, exec, s[2:3]
	s_cbranch_vccnz .LBB87_3
.LBB87_6:
                                        ; implicit-def: $sgpr29
.LBB87_7:
	s_waitcnt lgkmcnt(0)
	s_mov_b32 s29, s0
.LBB87_8:
	s_waitcnt lgkmcnt(0)
	s_cmp_eq_u32 s28, 0
	s_cselect_b64 s[0:1], -1, 0
	s_cmp_eq_u32 s29, 1
	s_cselect_b64 s[2:3], -1, 0
	s_and_b64 s[0:1], s[0:1], s[2:3]
	s_and_b64 vcc, exec, s[0:1]
	s_cbranch_vccnz .LBB87_34
; %bb.9:
	s_load_dword s0, s[4:5], 0x94
	s_load_dwordx4 s[20:23], s[4:5], 0x0
	s_waitcnt lgkmcnt(0)
	s_and_b32 s0, s0, 0xffff
	s_mul_i32 s6, s6, s0
	v_add_u32_e32 v1, s6, v0
	v_lshrrev_b32_e32 v2, 6, v1
	v_cmp_gt_i32_e32 vcc, s21, v2
	s_and_saveexec_b64 s[0:1], vcc
	s_cbranch_execz .LBB87_34
; %bb.10:
	s_cmp_lt_i32 s22, 1
	s_cbranch_scc1 .LBB87_34
; %bb.11:
	s_load_dwordx8 s[8:15], s[4:5], 0x28
	v_lshlrev_b32_e32 v2, 3, v2
	s_cmp_lg_u32 s29, 0
	v_and_b32_e32 v12, 31, v0
	v_lshrrev_b32_e32 v0, 5, v0
	s_waitcnt lgkmcnt(0)
	global_load_dwordx4 v[4:7], v2, s[8:9]
	s_load_dwordx4 s[24:27], s[4:5], 0x60
	s_load_dwordx2 s[6:7], s[4:5], 0x48
	s_cselect_b64 s[4:5], -1, 0
	s_cmp_lg_u32 s16, 1
	s_cselect_b64 s[8:9], -1, 0
	s_cmp_eq_u32 s20, 0
	v_lshlrev_b32_e32 v13, 7, v0
	v_mul_u32_u24_e32 v0, 0x60, v0
	s_cselect_b64 s[0:1], -1, 0
	v_lshrrev_b32_e32 v2, 5, v1
	v_bfe_u32 v1, v1, 5, 1
	v_mul_u32_u24_e32 v3, 3, v12
	v_or_b32_e32 v15, 0x100, v0
	v_cndmask_b32_e64 v0, 0, 1, s[0:1]
	v_add_u32_e32 v16, v15, v3
	v_lshlrev_b32_e32 v3, v0, v1
	s_and_b64 s[0:1], s[0:1], exec
	s_waitcnt lgkmcnt(0)
	v_mad_u64_u32 v[0:1], s[0:1], s26, v2, 0
	v_lshlrev_b32_e32 v8, 2, v2
	v_mov_b32_e32 v10, s25
	v_mad_u64_u32 v[1:2], s[0:1], s27, v2, v[1:2]
	v_add_co_u32_e32 v17, vcc, s24, v8
	v_addc_co_u32_e32 v18, vcc, 0, v10, vcc
	v_mov_b32_e32 v11, s13
	v_add_co_u32_e32 v19, vcc, s12, v3
	v_lshlrev_b64 v[0:1], 2, v[0:1]
	v_addc_co_u32_e32 v20, vcc, 0, v11, vcc
	v_mov_b32_e32 v9, s25
	v_add_co_u32_e32 v21, vcc, s24, v0
	v_addc_co_u32_e32 v22, vcc, v9, v1, vcc
	s_mov_b32 s23, 0
	s_mov_b32 s30, 0xc0c0400
	v_lshl_or_b32 v14, v12, 2, v13
	s_cselect_b32 s16, 1, 2
	s_mov_b32 s24, 0x4000c0c
	s_mov_b32 s25, 0xc0c0100
	s_waitcnt vmcnt(0)
	v_subrev_co_u32_e32 v0, vcc, s17, v4
	v_subbrev_co_u32_e32 v1, vcc, 0, v5, vcc
	v_subrev_co_u32_e32 v2, vcc, s17, v6
	v_cmp_lt_i64_e64 s[0:1], v[4:5], v[6:7]
	v_subbrev_co_u32_e32 v3, vcc, 0, v7, vcc
	s_branch .LBB87_13
.LBB87_12:                              ;   in Loop: Header=BB87_13 Depth=1
	s_or_b64 exec, exec, s[2:3]
	s_add_i32 s23, s23, 32
	s_cmp_lt_i32 s23, s22
	s_cbranch_scc0 .LBB87_34
.LBB87_13:                              ; =>This Loop Header: Depth=1
                                        ;     Child Loop BB87_16 Depth 2
                                        ;       Child Loop BB87_20 Depth 3
	v_or_b32_e32 v4, s23, v12
	v_ashrrev_i32_e32 v5, 31, v4
	v_mov_b32_e32 v23, 0
	s_and_saveexec_b64 s[12:13], s[0:1]
	s_cbranch_execz .LBB87_22
; %bb.14:                               ;   in Loop: Header=BB87_13 Depth=1
	v_mov_b32_e32 v7, s15
	v_add_co_u32_e64 v6, s[2:3], s14, v4
	v_mov_b32_e32 v9, v1
	v_cmp_gt_i32_e32 vcc, s22, v4
	v_addc_co_u32_e64 v7, s[2:3], v7, v5, s[2:3]
	v_mov_b32_e32 v23, 0
	s_mov_b64 s[18:19], 0
	v_mov_b32_e32 v8, v0
	s_branch .LBB87_16
.LBB87_15:                              ;   in Loop: Header=BB87_16 Depth=2
	s_or_b64 exec, exec, s[2:3]
	v_add_co_u32_e64 v8, s[2:3], 32, v8
	v_addc_co_u32_e64 v9, s[2:3], 0, v9, s[2:3]
	v_cmp_ge_i64_e64 s[2:3], v[8:9], v[2:3]
	s_or_b64 s[18:19], s[2:3], s[18:19]
	s_andn2_b64 exec, exec, s[18:19]
	s_cbranch_execz .LBB87_21
.LBB87_16:                              ;   Parent Loop BB87_13 Depth=1
                                        ; =>  This Loop Header: Depth=2
                                        ;       Child Loop BB87_20 Depth 3
	v_add_co_u32_e64 v10, s[2:3], v8, v12
	v_addc_co_u32_e64 v11, s[2:3], 0, v9, s[2:3]
	v_cmp_lt_i64_e64 s[2:3], v[10:11], v[2:3]
	v_mov_b32_e32 v26, 0
	v_mov_b32_e32 v24, 0
	v_mov_b32_e32 v25, 0
	s_and_saveexec_b64 s[20:21], s[2:3]
	s_cbranch_execz .LBB87_18
; %bb.17:                               ;   in Loop: Header=BB87_16 Depth=2
	v_lshlrev_b64 v[10:11], 2, v[10:11]
	v_mov_b32_e32 v25, s11
	v_add_co_u32_e64 v24, s[2:3], s10, v10
	v_addc_co_u32_e64 v25, s[2:3], v25, v11, s[2:3]
	v_add_co_u32_e64 v10, s[2:3], v19, v10
	global_load_dword v28, v[24:25], off
	v_addc_co_u32_e64 v11, s[2:3], v20, v11, s[2:3]
	v_add_co_u32_e64 v26, s[2:3], s16, v10
	v_addc_co_u32_e64 v27, s[2:3], 0, v11, s[2:3]
	global_load_ubyte v24, v[10:11], off
	global_load_ubyte v25, v[26:27], off
	s_waitcnt vmcnt(2)
	v_subrev_u32_e32 v10, s17, v28
	v_lshlrev_b32_e32 v26, 1, v10
.LBB87_18:                              ;   in Loop: Header=BB87_16 Depth=2
	s_or_b64 exec, exec, s[20:21]
	ds_write_b32 v14, v26
	s_waitcnt vmcnt(1)
	ds_write_b8 v16, v24
	s_waitcnt vmcnt(0)
	ds_write_b8 v16, v25 offset:1
	s_waitcnt lgkmcnt(0)
	; wave barrier
	s_and_saveexec_b64 s[2:3], vcc
	s_cbranch_execz .LBB87_15
; %bb.19:                               ;   in Loop: Header=BB87_16 Depth=2
	s_mov_b32 s20, 0
	v_mov_b32_e32 v10, v15
.LBB87_20:                              ;   Parent Loop BB87_13 Depth=1
                                        ;     Parent Loop BB87_16 Depth=2
                                        ; =>    This Inner Loop Header: Depth=3
	v_add_u32_e32 v11, s20, v13
	ds_read_b64 v[24:25], v11
	s_add_i32 s20, s20, 8
	s_cmpk_lg_i32 s20, 0x80
	s_waitcnt lgkmcnt(0)
	v_ashrrev_i32_e32 v11, 31, v24
	v_mul_lo_u32 v11, s6, v11
	v_mul_lo_u32 v28, s7, v24
	v_mad_u64_u32 v[26:27], s[34:35], s6, v24, v[6:7]
	v_add_u32_e32 v24, 1, v24
	v_mul_lo_u32 v29, s7, v24
	v_add3_u32 v27, v28, v27, v11
	global_load_sbyte v11, v[26:27], off
	v_ashrrev_i32_e32 v26, 31, v24
	v_mul_lo_u32 v28, s6, v26
	v_mad_u64_u32 v[26:27], s[34:35], s6, v24, v[6:7]
	v_ashrrev_i32_e32 v24, 31, v25
	v_mul_lo_u32 v24, s6, v24
	v_add3_u32 v27, v29, v27, v28
	global_load_sbyte v28, v[26:27], off
	v_mul_lo_u32 v29, s7, v25
	v_mad_u64_u32 v[26:27], s[34:35], s6, v25, v[6:7]
	v_add3_u32 v27, v29, v27, v24
	v_add_u32_e32 v24, 1, v25
	v_ashrrev_i32_e32 v25, 31, v24
	global_load_sbyte v26, v[26:27], off
	v_mul_lo_u32 v27, s6, v25
	v_mul_lo_u32 v29, s7, v24
	v_mad_u64_u32 v[24:25], s[34:35], s6, v24, v[6:7]
	v_add3_u32 v25, v29, v25, v27
	global_load_sbyte v24, v[24:25], off
	ds_read_u16 v25, v10
	ds_read_i8 v27, v10 offset:3
	ds_read_i8 v29, v10 offset:4
	v_add_u32_e32 v10, 6, v10
	s_waitcnt vmcnt(2)
	v_perm_b32 v11, v28, v11, s30
	s_waitcnt vmcnt(0)
	v_perm_b32 v24, v24, v26, s24
	v_or_b32_e32 v11, v24, v11
	s_waitcnt lgkmcnt(2)
	v_perm_b32 v24, v25, v25, s25
	s_waitcnt lgkmcnt(0)
	v_perm_b32 v25, v29, v27, s24
	v_or_b32_e32 v24, v25, v24
	v_dot4_i32_i8 v23, v24, v11, v23
	s_cbranch_scc1 .LBB87_20
	s_branch .LBB87_15
.LBB87_21:                              ;   in Loop: Header=BB87_13 Depth=1
	s_or_b64 exec, exec, s[18:19]
.LBB87_22:                              ;   in Loop: Header=BB87_13 Depth=1
	s_or_b64 exec, exec, s[12:13]
	v_cmp_gt_i32_e32 vcc, s22, v4
	s_and_saveexec_b64 s[2:3], vcc
	s_cbranch_execz .LBB87_12
; %bb.23:                               ;   in Loop: Header=BB87_13 Depth=1
	s_mov_b64 s[12:13], -1
	s_and_b64 vcc, exec, s[4:5]
	s_cbranch_vccz .LBB87_29
; %bb.24:                               ;   in Loop: Header=BB87_13 Depth=1
	s_and_b64 vcc, exec, s[8:9]
	s_cbranch_vccz .LBB87_26
; %bb.25:                               ;   in Loop: Header=BB87_13 Depth=1
	v_lshlrev_b64 v[6:7], 2, v[4:5]
	v_mul_lo_u32 v8, v23, s28
	v_add_co_u32_e32 v6, vcc, v21, v6
	v_addc_co_u32_e32 v7, vcc, v22, v7, vcc
	global_load_dword v9, v[6:7], off
	s_waitcnt vmcnt(0)
	v_mad_u64_u32 v[8:9], s[12:13], v9, s29, v[8:9]
	s_mov_b64 s[12:13], 0
	global_store_dword v[6:7], v8, off
.LBB87_26:                              ;   in Loop: Header=BB87_13 Depth=1
	s_andn2_b64 vcc, exec, s[12:13]
	s_cbranch_vccnz .LBB87_28
; %bb.27:                               ;   in Loop: Header=BB87_13 Depth=1
	v_mul_lo_u32 v8, s27, v4
	v_mul_lo_u32 v9, s26, v5
	v_mad_u64_u32 v[6:7], s[12:13], s26, v4, 0
	v_add3_u32 v7, v7, v9, v8
	v_lshlrev_b64 v[6:7], 2, v[6:7]
	v_mul_lo_u32 v8, v23, s28
	v_add_co_u32_e32 v6, vcc, v17, v6
	v_addc_co_u32_e32 v7, vcc, v18, v7, vcc
	global_load_dword v9, v[6:7], off
	s_waitcnt vmcnt(0)
	v_mad_u64_u32 v[8:9], s[12:13], v9, s29, v[8:9]
	global_store_dword v[6:7], v8, off
.LBB87_28:                              ;   in Loop: Header=BB87_13 Depth=1
	s_mov_b64 s[12:13], 0
.LBB87_29:                              ;   in Loop: Header=BB87_13 Depth=1
	s_andn2_b64 vcc, exec, s[12:13]
	s_cbranch_vccnz .LBB87_12
; %bb.30:                               ;   in Loop: Header=BB87_13 Depth=1
	v_mul_lo_u32 v6, v23, s28
	s_mov_b64 s[12:13], -1
	s_and_b64 vcc, exec, s[8:9]
	s_cbranch_vccz .LBB87_32
; %bb.31:                               ;   in Loop: Header=BB87_13 Depth=1
	v_lshlrev_b64 v[7:8], 2, v[4:5]
	s_mov_b64 s[12:13], 0
	v_add_co_u32_e32 v7, vcc, v21, v7
	v_addc_co_u32_e32 v8, vcc, v22, v8, vcc
	global_store_dword v[7:8], v6, off
.LBB87_32:                              ;   in Loop: Header=BB87_13 Depth=1
	s_andn2_b64 vcc, exec, s[12:13]
	s_cbranch_vccnz .LBB87_12
; %bb.33:                               ;   in Loop: Header=BB87_13 Depth=1
	v_mul_lo_u32 v7, s27, v4
	v_mul_lo_u32 v8, s26, v5
	v_mad_u64_u32 v[4:5], s[12:13], s26, v4, 0
	v_add3_u32 v5, v5, v8, v7
	v_lshlrev_b64 v[4:5], 2, v[4:5]
	v_add_co_u32_e32 v4, vcc, v17, v4
	v_addc_co_u32_e32 v5, vcc, v18, v5, vcc
	global_store_dword v[4:5], v6, off
	s_branch .LBB87_12
.LBB87_34:
	s_endpgm
	.section	.rodata,"a",@progbits
	.p2align	6, 0x0
	.amdhsa_kernel _ZN9rocsparseL29bsrmmnt_small_blockdim_kernelILj64ELj32ELj2EliaaiiEEv20rocsparse_direction_T3_S2_llNS_24const_host_device_scalarIT7_EEPKT2_PKS2_PKT4_PKT5_llS5_PT6_ll16rocsparse_order_21rocsparse_index_base_b
		.amdhsa_group_segment_fixed_size 448
		.amdhsa_private_segment_fixed_size 0
		.amdhsa_kernarg_size 392
		.amdhsa_user_sgpr_count 6
		.amdhsa_user_sgpr_private_segment_buffer 1
		.amdhsa_user_sgpr_dispatch_ptr 0
		.amdhsa_user_sgpr_queue_ptr 0
		.amdhsa_user_sgpr_kernarg_segment_ptr 1
		.amdhsa_user_sgpr_dispatch_id 0
		.amdhsa_user_sgpr_flat_scratch_init 0
		.amdhsa_user_sgpr_private_segment_size 0
		.amdhsa_uses_dynamic_stack 0
		.amdhsa_system_sgpr_private_segment_wavefront_offset 0
		.amdhsa_system_sgpr_workgroup_id_x 1
		.amdhsa_system_sgpr_workgroup_id_y 0
		.amdhsa_system_sgpr_workgroup_id_z 0
		.amdhsa_system_sgpr_workgroup_info 0
		.amdhsa_system_vgpr_workitem_id 0
		.amdhsa_next_free_vgpr 30
		.amdhsa_next_free_sgpr 36
		.amdhsa_reserve_vcc 1
		.amdhsa_reserve_flat_scratch 0
		.amdhsa_float_round_mode_32 0
		.amdhsa_float_round_mode_16_64 0
		.amdhsa_float_denorm_mode_32 3
		.amdhsa_float_denorm_mode_16_64 3
		.amdhsa_dx10_clamp 1
		.amdhsa_ieee_mode 1
		.amdhsa_fp16_overflow 0
		.amdhsa_exception_fp_ieee_invalid_op 0
		.amdhsa_exception_fp_denorm_src 0
		.amdhsa_exception_fp_ieee_div_zero 0
		.amdhsa_exception_fp_ieee_overflow 0
		.amdhsa_exception_fp_ieee_underflow 0
		.amdhsa_exception_fp_ieee_inexact 0
		.amdhsa_exception_int_div_zero 0
	.end_amdhsa_kernel
	.section	.text._ZN9rocsparseL29bsrmmnt_small_blockdim_kernelILj64ELj32ELj2EliaaiiEEv20rocsparse_direction_T3_S2_llNS_24const_host_device_scalarIT7_EEPKT2_PKS2_PKT4_PKT5_llS5_PT6_ll16rocsparse_order_21rocsparse_index_base_b,"axG",@progbits,_ZN9rocsparseL29bsrmmnt_small_blockdim_kernelILj64ELj32ELj2EliaaiiEEv20rocsparse_direction_T3_S2_llNS_24const_host_device_scalarIT7_EEPKT2_PKS2_PKT4_PKT5_llS5_PT6_ll16rocsparse_order_21rocsparse_index_base_b,comdat
.Lfunc_end87:
	.size	_ZN9rocsparseL29bsrmmnt_small_blockdim_kernelILj64ELj32ELj2EliaaiiEEv20rocsparse_direction_T3_S2_llNS_24const_host_device_scalarIT7_EEPKT2_PKS2_PKT4_PKT5_llS5_PT6_ll16rocsparse_order_21rocsparse_index_base_b, .Lfunc_end87-_ZN9rocsparseL29bsrmmnt_small_blockdim_kernelILj64ELj32ELj2EliaaiiEEv20rocsparse_direction_T3_S2_llNS_24const_host_device_scalarIT7_EEPKT2_PKS2_PKT4_PKT5_llS5_PT6_ll16rocsparse_order_21rocsparse_index_base_b
                                        ; -- End function
	.set _ZN9rocsparseL29bsrmmnt_small_blockdim_kernelILj64ELj32ELj2EliaaiiEEv20rocsparse_direction_T3_S2_llNS_24const_host_device_scalarIT7_EEPKT2_PKS2_PKT4_PKT5_llS5_PT6_ll16rocsparse_order_21rocsparse_index_base_b.num_vgpr, 30
	.set _ZN9rocsparseL29bsrmmnt_small_blockdim_kernelILj64ELj32ELj2EliaaiiEEv20rocsparse_direction_T3_S2_llNS_24const_host_device_scalarIT7_EEPKT2_PKS2_PKT4_PKT5_llS5_PT6_ll16rocsparse_order_21rocsparse_index_base_b.num_agpr, 0
	.set _ZN9rocsparseL29bsrmmnt_small_blockdim_kernelILj64ELj32ELj2EliaaiiEEv20rocsparse_direction_T3_S2_llNS_24const_host_device_scalarIT7_EEPKT2_PKS2_PKT4_PKT5_llS5_PT6_ll16rocsparse_order_21rocsparse_index_base_b.numbered_sgpr, 36
	.set _ZN9rocsparseL29bsrmmnt_small_blockdim_kernelILj64ELj32ELj2EliaaiiEEv20rocsparse_direction_T3_S2_llNS_24const_host_device_scalarIT7_EEPKT2_PKS2_PKT4_PKT5_llS5_PT6_ll16rocsparse_order_21rocsparse_index_base_b.num_named_barrier, 0
	.set _ZN9rocsparseL29bsrmmnt_small_blockdim_kernelILj64ELj32ELj2EliaaiiEEv20rocsparse_direction_T3_S2_llNS_24const_host_device_scalarIT7_EEPKT2_PKS2_PKT4_PKT5_llS5_PT6_ll16rocsparse_order_21rocsparse_index_base_b.private_seg_size, 0
	.set _ZN9rocsparseL29bsrmmnt_small_blockdim_kernelILj64ELj32ELj2EliaaiiEEv20rocsparse_direction_T3_S2_llNS_24const_host_device_scalarIT7_EEPKT2_PKS2_PKT4_PKT5_llS5_PT6_ll16rocsparse_order_21rocsparse_index_base_b.uses_vcc, 1
	.set _ZN9rocsparseL29bsrmmnt_small_blockdim_kernelILj64ELj32ELj2EliaaiiEEv20rocsparse_direction_T3_S2_llNS_24const_host_device_scalarIT7_EEPKT2_PKS2_PKT4_PKT5_llS5_PT6_ll16rocsparse_order_21rocsparse_index_base_b.uses_flat_scratch, 0
	.set _ZN9rocsparseL29bsrmmnt_small_blockdim_kernelILj64ELj32ELj2EliaaiiEEv20rocsparse_direction_T3_S2_llNS_24const_host_device_scalarIT7_EEPKT2_PKS2_PKT4_PKT5_llS5_PT6_ll16rocsparse_order_21rocsparse_index_base_b.has_dyn_sized_stack, 0
	.set _ZN9rocsparseL29bsrmmnt_small_blockdim_kernelILj64ELj32ELj2EliaaiiEEv20rocsparse_direction_T3_S2_llNS_24const_host_device_scalarIT7_EEPKT2_PKS2_PKT4_PKT5_llS5_PT6_ll16rocsparse_order_21rocsparse_index_base_b.has_recursion, 0
	.set _ZN9rocsparseL29bsrmmnt_small_blockdim_kernelILj64ELj32ELj2EliaaiiEEv20rocsparse_direction_T3_S2_llNS_24const_host_device_scalarIT7_EEPKT2_PKS2_PKT4_PKT5_llS5_PT6_ll16rocsparse_order_21rocsparse_index_base_b.has_indirect_call, 0
	.section	.AMDGPU.csdata,"",@progbits
; Kernel info:
; codeLenInByte = 1436
; TotalNumSgprs: 40
; NumVgprs: 30
; ScratchSize: 0
; MemoryBound: 0
; FloatMode: 240
; IeeeMode: 1
; LDSByteSize: 448 bytes/workgroup (compile time only)
; SGPRBlocks: 4
; VGPRBlocks: 7
; NumSGPRsForWavesPerEU: 40
; NumVGPRsForWavesPerEU: 30
; Occupancy: 8
; WaveLimiterHint : 0
; COMPUTE_PGM_RSRC2:SCRATCH_EN: 0
; COMPUTE_PGM_RSRC2:USER_SGPR: 6
; COMPUTE_PGM_RSRC2:TRAP_HANDLER: 0
; COMPUTE_PGM_RSRC2:TGID_X_EN: 1
; COMPUTE_PGM_RSRC2:TGID_Y_EN: 0
; COMPUTE_PGM_RSRC2:TGID_Z_EN: 0
; COMPUTE_PGM_RSRC2:TIDIG_COMP_CNT: 0
	.section	.text._ZN9rocsparseL29bsrmmnt_small_blockdim_kernelILj64ELj64ELj2EliaaiiEEv20rocsparse_direction_T3_S2_llNS_24const_host_device_scalarIT7_EEPKT2_PKS2_PKT4_PKT5_llS5_PT6_ll16rocsparse_order_21rocsparse_index_base_b,"axG",@progbits,_ZN9rocsparseL29bsrmmnt_small_blockdim_kernelILj64ELj64ELj2EliaaiiEEv20rocsparse_direction_T3_S2_llNS_24const_host_device_scalarIT7_EEPKT2_PKS2_PKT4_PKT5_llS5_PT6_ll16rocsparse_order_21rocsparse_index_base_b,comdat
	.globl	_ZN9rocsparseL29bsrmmnt_small_blockdim_kernelILj64ELj64ELj2EliaaiiEEv20rocsparse_direction_T3_S2_llNS_24const_host_device_scalarIT7_EEPKT2_PKS2_PKT4_PKT5_llS5_PT6_ll16rocsparse_order_21rocsparse_index_base_b ; -- Begin function _ZN9rocsparseL29bsrmmnt_small_blockdim_kernelILj64ELj64ELj2EliaaiiEEv20rocsparse_direction_T3_S2_llNS_24const_host_device_scalarIT7_EEPKT2_PKS2_PKT4_PKT5_llS5_PT6_ll16rocsparse_order_21rocsparse_index_base_b
	.p2align	8
	.type	_ZN9rocsparseL29bsrmmnt_small_blockdim_kernelILj64ELj64ELj2EliaaiiEEv20rocsparse_direction_T3_S2_llNS_24const_host_device_scalarIT7_EEPKT2_PKS2_PKT4_PKT5_llS5_PT6_ll16rocsparse_order_21rocsparse_index_base_b,@function
_ZN9rocsparseL29bsrmmnt_small_blockdim_kernelILj64ELj64ELj2EliaaiiEEv20rocsparse_direction_T3_S2_llNS_24const_host_device_scalarIT7_EEPKT2_PKS2_PKT4_PKT5_llS5_PT6_ll16rocsparse_order_21rocsparse_index_base_b: ; @_ZN9rocsparseL29bsrmmnt_small_blockdim_kernelILj64ELj64ELj2EliaaiiEEv20rocsparse_direction_T3_S2_llNS_24const_host_device_scalarIT7_EEPKT2_PKS2_PKT4_PKT5_llS5_PT6_ll16rocsparse_order_21rocsparse_index_base_b
; %bb.0:
	s_load_dwordx4 s[16:19], s[4:5], 0x78
	s_load_dwordx2 s[8:9], s[4:5], 0x20
	s_mov_b64 s[10:11], -1
                                        ; implicit-def: $sgpr28
	s_waitcnt lgkmcnt(0)
	s_bitcmp1_b32 s18, 0
	s_cselect_b64 s[0:1], -1, 0
	s_xor_b64 s[2:3], s[0:1], -1
	s_and_b64 vcc, exec, s[2:3]
	s_cbranch_vccnz .LBB88_4
; %bb.1:
	s_load_dwordx2 s[0:1], s[4:5], 0x58
	s_andn2_b64 vcc, exec, s[10:11]
	s_cbranch_vccz .LBB88_5
.LBB88_2:
	s_and_b64 vcc, exec, s[2:3]
	s_cbranch_vccz .LBB88_6
.LBB88_3:
	s_waitcnt lgkmcnt(0)
	s_load_dword s29, s[0:1], 0x0
	s_cbranch_execz .LBB88_7
	s_branch .LBB88_8
.LBB88_4:
	s_load_dword s28, s[8:9], 0x0
	s_load_dwordx2 s[0:1], s[4:5], 0x58
	s_cbranch_execnz .LBB88_2
.LBB88_5:
	s_waitcnt lgkmcnt(0)
	s_mov_b32 s28, s8
	s_and_b64 vcc, exec, s[2:3]
	s_cbranch_vccnz .LBB88_3
.LBB88_6:
                                        ; implicit-def: $sgpr29
.LBB88_7:
	s_waitcnt lgkmcnt(0)
	s_mov_b32 s29, s0
.LBB88_8:
	s_waitcnt lgkmcnt(0)
	s_cmp_eq_u32 s28, 0
	s_cselect_b64 s[0:1], -1, 0
	s_cmp_eq_u32 s29, 1
	s_cselect_b64 s[2:3], -1, 0
	s_and_b64 s[0:1], s[0:1], s[2:3]
	s_and_b64 vcc, exec, s[0:1]
	s_cbranch_vccnz .LBB88_34
; %bb.9:
	s_load_dword s0, s[4:5], 0x94
	s_load_dwordx4 s[20:23], s[4:5], 0x0
	s_waitcnt lgkmcnt(0)
	s_and_b32 s0, s0, 0xffff
	s_mul_i32 s6, s6, s0
	v_add_u32_e32 v1, s6, v0
	v_lshrrev_b32_e32 v2, 7, v1
	v_cmp_gt_i32_e32 vcc, s21, v2
	s_and_saveexec_b64 s[0:1], vcc
	s_cbranch_execz .LBB88_34
; %bb.10:
	s_cmp_lt_i32 s22, 1
	s_cbranch_scc1 .LBB88_34
; %bb.11:
	s_load_dwordx8 s[8:15], s[4:5], 0x28
	v_lshlrev_b32_e32 v2, 3, v2
	s_cmp_lg_u32 s29, 0
	v_lshrrev_b32_e32 v3, 6, v1
	v_bfe_u32 v1, v1, 6, 1
	s_waitcnt lgkmcnt(0)
	global_load_dwordx4 v[5:8], v2, s[8:9]
	s_load_dwordx4 s[24:27], s[4:5], 0x60
	s_load_dwordx2 s[6:7], s[4:5], 0x48
	s_cselect_b64 s[4:5], -1, 0
	s_cmp_lg_u32 s16, 1
	s_cselect_b64 s[8:9], -1, 0
	s_cmp_eq_u32 s20, 0
	v_mul_u32_u24_e32 v2, 3, v0
	s_cselect_b64 s[0:1], -1, 0
	v_add_u32_e32 v14, 0x100, v2
	v_cndmask_b32_e64 v2, 0, 1, s[0:1]
	v_lshlrev_b32_e32 v9, v2, v1
	s_and_b64 s[0:1], s[0:1], exec
	s_waitcnt lgkmcnt(0)
	v_mad_u64_u32 v[1:2], s[0:1], s26, v3, 0
	v_lshlrev_b32_e32 v4, 2, v3
	v_mov_b32_e32 v11, s25
	v_mad_u64_u32 v[2:3], s[0:1], s27, v3, v[2:3]
	v_add_co_u32_e32 v15, vcc, s24, v4
	v_addc_co_u32_e32 v16, vcc, 0, v11, vcc
	v_mov_b32_e32 v12, s13
	v_add_co_u32_e32 v17, vcc, s12, v9
	v_lshlrev_b64 v[1:2], 2, v[1:2]
	v_addc_co_u32_e32 v18, vcc, 0, v12, vcc
	v_mov_b32_e32 v10, s25
	v_add_co_u32_e32 v19, vcc, s24, v1
	v_addc_co_u32_e32 v20, vcc, v10, v2, vcc
	s_mov_b32 s23, 0
	v_lshlrev_b32_e32 v13, 2, v0
	s_mov_b32 s30, 0xc0c0400
	s_cselect_b32 s16, 1, 2
	s_mov_b32 s24, 0x4000c0c
	s_mov_b32 s25, 0xc0c0100
	s_waitcnt vmcnt(0)
	v_subrev_co_u32_e32 v1, vcc, s17, v5
	v_subbrev_co_u32_e32 v2, vcc, 0, v6, vcc
	v_subrev_co_u32_e32 v3, vcc, s17, v7
	v_cmp_lt_i64_e64 s[0:1], v[5:6], v[7:8]
	v_subbrev_co_u32_e32 v4, vcc, 0, v8, vcc
	s_branch .LBB88_13
.LBB88_12:                              ;   in Loop: Header=BB88_13 Depth=1
	s_or_b64 exec, exec, s[2:3]
	s_add_i32 s23, s23, 64
	s_cmp_lt_i32 s23, s22
	s_cbranch_scc0 .LBB88_34
.LBB88_13:                              ; =>This Loop Header: Depth=1
                                        ;     Child Loop BB88_16 Depth 2
                                        ;       Child Loop BB88_20 Depth 3
	v_or_b32_e32 v5, s23, v0
	v_ashrrev_i32_e32 v6, 31, v5
	v_mov_b32_e32 v21, 0
	s_and_saveexec_b64 s[12:13], s[0:1]
	s_cbranch_execz .LBB88_22
; %bb.14:                               ;   in Loop: Header=BB88_13 Depth=1
	v_mov_b32_e32 v8, s15
	v_add_co_u32_e64 v7, s[2:3], s14, v5
	v_mov_b32_e32 v10, v2
	v_cmp_gt_i32_e32 vcc, s22, v5
	v_addc_co_u32_e64 v8, s[2:3], v8, v6, s[2:3]
	v_mov_b32_e32 v21, 0
	s_mov_b64 s[18:19], 0
	v_mov_b32_e32 v9, v1
	s_branch .LBB88_16
.LBB88_15:                              ;   in Loop: Header=BB88_16 Depth=2
	s_or_b64 exec, exec, s[2:3]
	v_add_co_u32_e64 v9, s[2:3], 64, v9
	v_addc_co_u32_e64 v10, s[2:3], 0, v10, s[2:3]
	v_cmp_ge_i64_e64 s[2:3], v[9:10], v[3:4]
	s_or_b64 s[18:19], s[2:3], s[18:19]
	s_andn2_b64 exec, exec, s[18:19]
	s_cbranch_execz .LBB88_21
.LBB88_16:                              ;   Parent Loop BB88_13 Depth=1
                                        ; =>  This Loop Header: Depth=2
                                        ;       Child Loop BB88_20 Depth 3
	v_add_co_u32_e64 v11, s[2:3], v9, v0
	v_addc_co_u32_e64 v12, s[2:3], 0, v10, s[2:3]
	v_cmp_lt_i64_e64 s[2:3], v[11:12], v[3:4]
	v_mov_b32_e32 v24, 0
	v_mov_b32_e32 v22, 0
	;; [unrolled: 1-line block ×3, first 2 shown]
	s_and_saveexec_b64 s[20:21], s[2:3]
	s_cbranch_execz .LBB88_18
; %bb.17:                               ;   in Loop: Header=BB88_16 Depth=2
	v_lshlrev_b64 v[11:12], 2, v[11:12]
	v_mov_b32_e32 v23, s11
	v_add_co_u32_e64 v22, s[2:3], s10, v11
	v_addc_co_u32_e64 v23, s[2:3], v23, v12, s[2:3]
	v_add_co_u32_e64 v11, s[2:3], v17, v11
	global_load_dword v26, v[22:23], off
	v_addc_co_u32_e64 v12, s[2:3], v18, v12, s[2:3]
	v_add_co_u32_e64 v24, s[2:3], s16, v11
	v_addc_co_u32_e64 v25, s[2:3], 0, v12, s[2:3]
	global_load_ubyte v22, v[11:12], off
	global_load_ubyte v23, v[24:25], off
	s_waitcnt vmcnt(2)
	v_subrev_u32_e32 v11, s17, v26
	v_lshlrev_b32_e32 v24, 1, v11
.LBB88_18:                              ;   in Loop: Header=BB88_16 Depth=2
	s_or_b64 exec, exec, s[20:21]
	ds_write_b32 v13, v24
	s_waitcnt vmcnt(1)
	ds_write_b8 v14, v22
	s_waitcnt vmcnt(0)
	ds_write_b8 v14, v23 offset:1
	s_waitcnt lgkmcnt(0)
	; wave barrier
	s_and_saveexec_b64 s[2:3], vcc
	s_cbranch_execz .LBB88_15
; %bb.19:                               ;   in Loop: Header=BB88_16 Depth=2
	s_mov_b32 s20, 0
	v_mov_b32_e32 v11, 0x100
.LBB88_20:                              ;   Parent Loop BB88_13 Depth=1
                                        ;     Parent Loop BB88_16 Depth=2
                                        ; =>    This Inner Loop Header: Depth=3
	v_mov_b32_e32 v12, s20
	ds_read_b64 v[22:23], v12
	s_add_i32 s20, s20, 8
	s_waitcnt lgkmcnt(0)
	v_readfirstlane_b32 s21, v22
	v_readfirstlane_b32 s31, v23
	s_ashr_i32 s33, s21, 31
	s_mul_i32 s36, s7, s21
	v_mov_b32_e32 v12, s21
	s_add_i32 s21, s21, 1
	s_ashr_i32 s37, s31, 31
	s_mul_i32 s38, s7, s31
	v_mov_b32_e32 v24, s31
	s_add_i32 s31, s31, 1
	v_mad_u64_u32 v[22:23], s[34:35], s6, v12, v[7:8]
	v_mov_b32_e32 v12, s21
	v_mov_b32_e32 v28, s31
	v_mad_u64_u32 v[24:25], s[34:35], s6, v24, v[7:8]
	v_mad_u64_u32 v[26:27], s[34:35], s6, v12, v[7:8]
	;; [unrolled: 1-line block ×3, first 2 shown]
	s_mul_i32 s33, s6, s33
	s_ashr_i32 s39, s21, 31
	s_mul_i32 s40, s7, s21
	s_mul_i32 s21, s6, s37
	s_ashr_i32 s37, s31, 31
	s_mul_i32 s41, s7, s31
	s_add_i32 s33, s33, s36
	s_mul_i32 s31, s6, s39
	s_mul_i32 s36, s6, s37
	s_add_i32 s21, s21, s38
	s_add_i32 s31, s31, s40
	;; [unrolled: 1-line block ×3, first 2 shown]
	v_add_u32_e32 v23, s33, v23
	v_add_u32_e32 v25, s21, v25
	;; [unrolled: 1-line block ×4, first 2 shown]
	global_load_sbyte v12, v[22:23], off
	global_load_sbyte v30, v[26:27], off
	;; [unrolled: 1-line block ×3, first 2 shown]
                                        ; kill: killed $vgpr26 killed $vgpr27
                                        ; kill: killed $vgpr22 killed $vgpr23
                                        ; kill: killed $vgpr24 killed $vgpr25
	s_nop 0
	global_load_sbyte v22, v[28:29], off
	ds_read_u16 v23, v11
	ds_read_i8 v24, v11 offset:3
	ds_read_i8 v25, v11 offset:4
	v_add_u32_e32 v11, 6, v11
	s_cmpk_lg_i32 s20, 0x100
	s_waitcnt lgkmcnt(2)
	v_perm_b32 v23, v23, v23, s25
	s_waitcnt lgkmcnt(0)
	v_perm_b32 v24, v25, v24, s24
	v_or_b32_e32 v23, v24, v23
	s_waitcnt vmcnt(2)
	v_perm_b32 v12, v30, v12, s30
	s_waitcnt vmcnt(0)
	v_perm_b32 v22, v22, v31, s24
	v_or_b32_e32 v12, v22, v12
	v_dot4_i32_i8 v21, v23, v12, v21
	s_cbranch_scc1 .LBB88_20
	s_branch .LBB88_15
.LBB88_21:                              ;   in Loop: Header=BB88_13 Depth=1
	s_or_b64 exec, exec, s[18:19]
.LBB88_22:                              ;   in Loop: Header=BB88_13 Depth=1
	s_or_b64 exec, exec, s[12:13]
	v_cmp_gt_i32_e32 vcc, s22, v5
	s_and_saveexec_b64 s[2:3], vcc
	s_cbranch_execz .LBB88_12
; %bb.23:                               ;   in Loop: Header=BB88_13 Depth=1
	s_mov_b64 s[12:13], -1
	s_and_b64 vcc, exec, s[4:5]
	s_cbranch_vccz .LBB88_29
; %bb.24:                               ;   in Loop: Header=BB88_13 Depth=1
	s_and_b64 vcc, exec, s[8:9]
	s_cbranch_vccz .LBB88_26
; %bb.25:                               ;   in Loop: Header=BB88_13 Depth=1
	v_lshlrev_b64 v[7:8], 2, v[5:6]
	v_mul_lo_u32 v9, v21, s28
	v_add_co_u32_e32 v7, vcc, v19, v7
	v_addc_co_u32_e32 v8, vcc, v20, v8, vcc
	global_load_dword v10, v[7:8], off
	s_waitcnt vmcnt(0)
	v_mad_u64_u32 v[9:10], s[12:13], v10, s29, v[9:10]
	s_mov_b64 s[12:13], 0
	global_store_dword v[7:8], v9, off
.LBB88_26:                              ;   in Loop: Header=BB88_13 Depth=1
	s_andn2_b64 vcc, exec, s[12:13]
	s_cbranch_vccnz .LBB88_28
; %bb.27:                               ;   in Loop: Header=BB88_13 Depth=1
	v_mul_lo_u32 v9, s27, v5
	v_mul_lo_u32 v10, s26, v6
	v_mad_u64_u32 v[7:8], s[12:13], s26, v5, 0
	v_add3_u32 v8, v8, v10, v9
	v_lshlrev_b64 v[7:8], 2, v[7:8]
	v_mul_lo_u32 v9, v21, s28
	v_add_co_u32_e32 v7, vcc, v15, v7
	v_addc_co_u32_e32 v8, vcc, v16, v8, vcc
	global_load_dword v10, v[7:8], off
	s_waitcnt vmcnt(0)
	v_mad_u64_u32 v[9:10], s[12:13], v10, s29, v[9:10]
	global_store_dword v[7:8], v9, off
.LBB88_28:                              ;   in Loop: Header=BB88_13 Depth=1
	s_mov_b64 s[12:13], 0
.LBB88_29:                              ;   in Loop: Header=BB88_13 Depth=1
	s_andn2_b64 vcc, exec, s[12:13]
	s_cbranch_vccnz .LBB88_12
; %bb.30:                               ;   in Loop: Header=BB88_13 Depth=1
	v_mul_lo_u32 v7, v21, s28
	s_mov_b64 s[12:13], -1
	s_and_b64 vcc, exec, s[8:9]
	s_cbranch_vccz .LBB88_32
; %bb.31:                               ;   in Loop: Header=BB88_13 Depth=1
	v_lshlrev_b64 v[8:9], 2, v[5:6]
	s_mov_b64 s[12:13], 0
	v_add_co_u32_e32 v8, vcc, v19, v8
	v_addc_co_u32_e32 v9, vcc, v20, v9, vcc
	global_store_dword v[8:9], v7, off
.LBB88_32:                              ;   in Loop: Header=BB88_13 Depth=1
	s_andn2_b64 vcc, exec, s[12:13]
	s_cbranch_vccnz .LBB88_12
; %bb.33:                               ;   in Loop: Header=BB88_13 Depth=1
	v_mul_lo_u32 v8, s27, v5
	v_mul_lo_u32 v9, s26, v6
	v_mad_u64_u32 v[5:6], s[12:13], s26, v5, 0
	v_add3_u32 v6, v6, v9, v8
	v_lshlrev_b64 v[5:6], 2, v[5:6]
	v_add_co_u32_e32 v5, vcc, v15, v5
	v_addc_co_u32_e32 v6, vcc, v16, v6, vcc
	global_store_dword v[5:6], v7, off
	s_branch .LBB88_12
.LBB88_34:
	s_endpgm
	.section	.rodata,"a",@progbits
	.p2align	6, 0x0
	.amdhsa_kernel _ZN9rocsparseL29bsrmmnt_small_blockdim_kernelILj64ELj64ELj2EliaaiiEEv20rocsparse_direction_T3_S2_llNS_24const_host_device_scalarIT7_EEPKT2_PKS2_PKT4_PKT5_llS5_PT6_ll16rocsparse_order_21rocsparse_index_base_b
		.amdhsa_group_segment_fixed_size 448
		.amdhsa_private_segment_fixed_size 0
		.amdhsa_kernarg_size 392
		.amdhsa_user_sgpr_count 6
		.amdhsa_user_sgpr_private_segment_buffer 1
		.amdhsa_user_sgpr_dispatch_ptr 0
		.amdhsa_user_sgpr_queue_ptr 0
		.amdhsa_user_sgpr_kernarg_segment_ptr 1
		.amdhsa_user_sgpr_dispatch_id 0
		.amdhsa_user_sgpr_flat_scratch_init 0
		.amdhsa_user_sgpr_private_segment_size 0
		.amdhsa_uses_dynamic_stack 0
		.amdhsa_system_sgpr_private_segment_wavefront_offset 0
		.amdhsa_system_sgpr_workgroup_id_x 1
		.amdhsa_system_sgpr_workgroup_id_y 0
		.amdhsa_system_sgpr_workgroup_id_z 0
		.amdhsa_system_sgpr_workgroup_info 0
		.amdhsa_system_vgpr_workitem_id 0
		.amdhsa_next_free_vgpr 32
		.amdhsa_next_free_sgpr 42
		.amdhsa_reserve_vcc 1
		.amdhsa_reserve_flat_scratch 0
		.amdhsa_float_round_mode_32 0
		.amdhsa_float_round_mode_16_64 0
		.amdhsa_float_denorm_mode_32 3
		.amdhsa_float_denorm_mode_16_64 3
		.amdhsa_dx10_clamp 1
		.amdhsa_ieee_mode 1
		.amdhsa_fp16_overflow 0
		.amdhsa_exception_fp_ieee_invalid_op 0
		.amdhsa_exception_fp_denorm_src 0
		.amdhsa_exception_fp_ieee_div_zero 0
		.amdhsa_exception_fp_ieee_overflow 0
		.amdhsa_exception_fp_ieee_underflow 0
		.amdhsa_exception_fp_ieee_inexact 0
		.amdhsa_exception_int_div_zero 0
	.end_amdhsa_kernel
	.section	.text._ZN9rocsparseL29bsrmmnt_small_blockdim_kernelILj64ELj64ELj2EliaaiiEEv20rocsparse_direction_T3_S2_llNS_24const_host_device_scalarIT7_EEPKT2_PKS2_PKT4_PKT5_llS5_PT6_ll16rocsparse_order_21rocsparse_index_base_b,"axG",@progbits,_ZN9rocsparseL29bsrmmnt_small_blockdim_kernelILj64ELj64ELj2EliaaiiEEv20rocsparse_direction_T3_S2_llNS_24const_host_device_scalarIT7_EEPKT2_PKS2_PKT4_PKT5_llS5_PT6_ll16rocsparse_order_21rocsparse_index_base_b,comdat
.Lfunc_end88:
	.size	_ZN9rocsparseL29bsrmmnt_small_blockdim_kernelILj64ELj64ELj2EliaaiiEEv20rocsparse_direction_T3_S2_llNS_24const_host_device_scalarIT7_EEPKT2_PKS2_PKT4_PKT5_llS5_PT6_ll16rocsparse_order_21rocsparse_index_base_b, .Lfunc_end88-_ZN9rocsparseL29bsrmmnt_small_blockdim_kernelILj64ELj64ELj2EliaaiiEEv20rocsparse_direction_T3_S2_llNS_24const_host_device_scalarIT7_EEPKT2_PKS2_PKT4_PKT5_llS5_PT6_ll16rocsparse_order_21rocsparse_index_base_b
                                        ; -- End function
	.set _ZN9rocsparseL29bsrmmnt_small_blockdim_kernelILj64ELj64ELj2EliaaiiEEv20rocsparse_direction_T3_S2_llNS_24const_host_device_scalarIT7_EEPKT2_PKS2_PKT4_PKT5_llS5_PT6_ll16rocsparse_order_21rocsparse_index_base_b.num_vgpr, 32
	.set _ZN9rocsparseL29bsrmmnt_small_blockdim_kernelILj64ELj64ELj2EliaaiiEEv20rocsparse_direction_T3_S2_llNS_24const_host_device_scalarIT7_EEPKT2_PKS2_PKT4_PKT5_llS5_PT6_ll16rocsparse_order_21rocsparse_index_base_b.num_agpr, 0
	.set _ZN9rocsparseL29bsrmmnt_small_blockdim_kernelILj64ELj64ELj2EliaaiiEEv20rocsparse_direction_T3_S2_llNS_24const_host_device_scalarIT7_EEPKT2_PKS2_PKT4_PKT5_llS5_PT6_ll16rocsparse_order_21rocsparse_index_base_b.numbered_sgpr, 42
	.set _ZN9rocsparseL29bsrmmnt_small_blockdim_kernelILj64ELj64ELj2EliaaiiEEv20rocsparse_direction_T3_S2_llNS_24const_host_device_scalarIT7_EEPKT2_PKS2_PKT4_PKT5_llS5_PT6_ll16rocsparse_order_21rocsparse_index_base_b.num_named_barrier, 0
	.set _ZN9rocsparseL29bsrmmnt_small_blockdim_kernelILj64ELj64ELj2EliaaiiEEv20rocsparse_direction_T3_S2_llNS_24const_host_device_scalarIT7_EEPKT2_PKS2_PKT4_PKT5_llS5_PT6_ll16rocsparse_order_21rocsparse_index_base_b.private_seg_size, 0
	.set _ZN9rocsparseL29bsrmmnt_small_blockdim_kernelILj64ELj64ELj2EliaaiiEEv20rocsparse_direction_T3_S2_llNS_24const_host_device_scalarIT7_EEPKT2_PKS2_PKT4_PKT5_llS5_PT6_ll16rocsparse_order_21rocsparse_index_base_b.uses_vcc, 1
	.set _ZN9rocsparseL29bsrmmnt_small_blockdim_kernelILj64ELj64ELj2EliaaiiEEv20rocsparse_direction_T3_S2_llNS_24const_host_device_scalarIT7_EEPKT2_PKS2_PKT4_PKT5_llS5_PT6_ll16rocsparse_order_21rocsparse_index_base_b.uses_flat_scratch, 0
	.set _ZN9rocsparseL29bsrmmnt_small_blockdim_kernelILj64ELj64ELj2EliaaiiEEv20rocsparse_direction_T3_S2_llNS_24const_host_device_scalarIT7_EEPKT2_PKS2_PKT4_PKT5_llS5_PT6_ll16rocsparse_order_21rocsparse_index_base_b.has_dyn_sized_stack, 0
	.set _ZN9rocsparseL29bsrmmnt_small_blockdim_kernelILj64ELj64ELj2EliaaiiEEv20rocsparse_direction_T3_S2_llNS_24const_host_device_scalarIT7_EEPKT2_PKS2_PKT4_PKT5_llS5_PT6_ll16rocsparse_order_21rocsparse_index_base_b.has_recursion, 0
	.set _ZN9rocsparseL29bsrmmnt_small_blockdim_kernelILj64ELj64ELj2EliaaiiEEv20rocsparse_direction_T3_S2_llNS_24const_host_device_scalarIT7_EEPKT2_PKS2_PKT4_PKT5_llS5_PT6_ll16rocsparse_order_21rocsparse_index_base_b.has_indirect_call, 0
	.section	.AMDGPU.csdata,"",@progbits
; Kernel info:
; codeLenInByte = 1408
; TotalNumSgprs: 46
; NumVgprs: 32
; ScratchSize: 0
; MemoryBound: 0
; FloatMode: 240
; IeeeMode: 1
; LDSByteSize: 448 bytes/workgroup (compile time only)
; SGPRBlocks: 5
; VGPRBlocks: 7
; NumSGPRsForWavesPerEU: 46
; NumVGPRsForWavesPerEU: 32
; Occupancy: 8
; WaveLimiterHint : 0
; COMPUTE_PGM_RSRC2:SCRATCH_EN: 0
; COMPUTE_PGM_RSRC2:USER_SGPR: 6
; COMPUTE_PGM_RSRC2:TRAP_HANDLER: 0
; COMPUTE_PGM_RSRC2:TGID_X_EN: 1
; COMPUTE_PGM_RSRC2:TGID_Y_EN: 0
; COMPUTE_PGM_RSRC2:TGID_Z_EN: 0
; COMPUTE_PGM_RSRC2:TIDIG_COMP_CNT: 0
	.section	.text._ZN9rocsparseL29bsrmmnt_small_blockdim_kernelILj64ELj8ELj2EllaaiiEEv20rocsparse_direction_T3_S2_llNS_24const_host_device_scalarIT7_EEPKT2_PKS2_PKT4_PKT5_llS5_PT6_ll16rocsparse_order_21rocsparse_index_base_b,"axG",@progbits,_ZN9rocsparseL29bsrmmnt_small_blockdim_kernelILj64ELj8ELj2EllaaiiEEv20rocsparse_direction_T3_S2_llNS_24const_host_device_scalarIT7_EEPKT2_PKS2_PKT4_PKT5_llS5_PT6_ll16rocsparse_order_21rocsparse_index_base_b,comdat
	.globl	_ZN9rocsparseL29bsrmmnt_small_blockdim_kernelILj64ELj8ELj2EllaaiiEEv20rocsparse_direction_T3_S2_llNS_24const_host_device_scalarIT7_EEPKT2_PKS2_PKT4_PKT5_llS5_PT6_ll16rocsparse_order_21rocsparse_index_base_b ; -- Begin function _ZN9rocsparseL29bsrmmnt_small_blockdim_kernelILj64ELj8ELj2EllaaiiEEv20rocsparse_direction_T3_S2_llNS_24const_host_device_scalarIT7_EEPKT2_PKS2_PKT4_PKT5_llS5_PT6_ll16rocsparse_order_21rocsparse_index_base_b
	.p2align	8
	.type	_ZN9rocsparseL29bsrmmnt_small_blockdim_kernelILj64ELj8ELj2EllaaiiEEv20rocsparse_direction_T3_S2_llNS_24const_host_device_scalarIT7_EEPKT2_PKS2_PKT4_PKT5_llS5_PT6_ll16rocsparse_order_21rocsparse_index_base_b,@function
_ZN9rocsparseL29bsrmmnt_small_blockdim_kernelILj64ELj8ELj2EllaaiiEEv20rocsparse_direction_T3_S2_llNS_24const_host_device_scalarIT7_EEPKT2_PKS2_PKT4_PKT5_llS5_PT6_ll16rocsparse_order_21rocsparse_index_base_b: ; @_ZN9rocsparseL29bsrmmnt_small_blockdim_kernelILj64ELj8ELj2EllaaiiEEv20rocsparse_direction_T3_S2_llNS_24const_host_device_scalarIT7_EEPKT2_PKS2_PKT4_PKT5_llS5_PT6_ll16rocsparse_order_21rocsparse_index_base_b
; %bb.0:
	s_load_dwordx4 s[0:3], s[4:5], 0x80
	s_load_dwordx2 s[10:11], s[4:5], 0x28
	s_mov_b64 s[12:13], -1
                                        ; implicit-def: $sgpr28
	s_waitcnt lgkmcnt(0)
	s_bitcmp1_b32 s2, 0
	s_cselect_b64 s[2:3], -1, 0
	s_xor_b64 s[8:9], s[2:3], -1
	s_and_b64 vcc, exec, s[8:9]
	s_cbranch_vccnz .LBB89_4
; %bb.1:
	s_load_dwordx2 s[2:3], s[4:5], 0x60
	s_andn2_b64 vcc, exec, s[12:13]
	s_cbranch_vccz .LBB89_5
.LBB89_2:
	s_and_b64 vcc, exec, s[8:9]
	s_cbranch_vccz .LBB89_6
.LBB89_3:
	s_waitcnt lgkmcnt(0)
	s_load_dword s29, s[2:3], 0x0
	s_cbranch_execz .LBB89_7
	s_branch .LBB89_8
.LBB89_4:
	s_load_dword s28, s[10:11], 0x0
	s_load_dwordx2 s[2:3], s[4:5], 0x60
	s_cbranch_execnz .LBB89_2
.LBB89_5:
	s_waitcnt lgkmcnt(0)
	s_mov_b32 s28, s10
	s_and_b64 vcc, exec, s[8:9]
	s_cbranch_vccnz .LBB89_3
.LBB89_6:
                                        ; implicit-def: $sgpr29
.LBB89_7:
	s_waitcnt lgkmcnt(0)
	s_mov_b32 s29, s2
.LBB89_8:
	s_waitcnt lgkmcnt(0)
	s_cmp_eq_u32 s28, 0
	s_cselect_b64 s[2:3], -1, 0
	s_cmp_eq_u32 s29, 1
	s_cselect_b64 s[8:9], -1, 0
	s_and_b64 s[2:3], s[2:3], s[8:9]
	s_and_b64 vcc, exec, s[2:3]
	s_cbranch_vccnz .LBB89_34
; %bb.9:
	s_load_dword s2, s[4:5], 0x9c
	s_load_dwordx4 s[16:19], s[4:5], 0x8
	v_mov_b32_e32 v2, 0
	s_waitcnt lgkmcnt(0)
	s_and_b32 s2, s2, 0xffff
	s_mul_i32 s6, s6, s2
	v_add_u32_e32 v3, s6, v0
	v_lshrrev_b32_e32 v1, 4, v3
	v_cmp_gt_i64_e32 vcc, s[16:17], v[1:2]
	s_and_saveexec_b64 s[2:3], vcc
	s_cbranch_execz .LBB89_34
; %bb.10:
	v_cmp_lt_i64_e64 s[2:3], s[18:19], 1
	s_and_b64 vcc, exec, s[2:3]
	s_cbranch_vccnz .LBB89_34
; %bb.11:
	s_load_dwordx8 s[8:15], s[4:5], 0x30
	v_lshlrev_b32_e32 v1, 3, v1
	v_lshrrev_b32_e32 v10, 3, v3
	v_and_b32_e32 v14, 7, v0
	v_lshrrev_b32_e32 v0, 3, v0
	s_waitcnt lgkmcnt(0)
	global_load_dwordx4 v[4:7], v1, s[8:9]
	s_load_dword s2, s[4:5], 0x0
	s_load_dwordx4 s[20:23], s[4:5], 0x68
	s_load_dwordx2 s[6:7], s[4:5], 0x50
	v_lshlrev_b32_e32 v15, 6, v0
	v_mul_u32_u24_e32 v0, 24, v0
	s_waitcnt lgkmcnt(0)
	s_cmp_eq_u32 s2, 0
	v_mad_u64_u32 v[8:9], s[2:3], v10, s22, 0
	v_lshlrev_b32_e32 v11, 2, v10
	v_or_b32_e32 v16, 0x200, v0
	v_mov_b32_e32 v0, s21
	s_cselect_b64 s[2:3], -1, 0
	v_add_co_u32_e32 v18, vcc, s20, v11
	v_bfe_u32 v1, v3, 3, 1
	v_mov_b32_e32 v2, 0
	s_cmp_lg_u32 s29, 0
	v_addc_co_u32_e32 v19, vcc, 0, v0, vcc
	v_cndmask_b32_e64 v0, 0, 1, s[2:3]
	v_mul_u32_u24_e32 v3, 3, v14
	s_cselect_b64 s[16:17], -1, 0
	s_cmp_lg_u32 s0, 1
	v_lshlrev_b64 v[0:1], v0, v[1:2]
	v_mov_b32_e32 v2, v9
	v_add_u32_e32 v17, v16, v3
	s_cselect_b64 s[24:25], -1, 0
	s_and_b64 s[2:3], s[2:3], exec
	v_mad_u64_u32 v[2:3], s[2:3], v10, s23, v[2:3]
	v_mov_b32_e32 v13, s13
	v_add_co_u32_e32 v20, vcc, s12, v0
	v_mov_b32_e32 v9, v2
	v_addc_co_u32_e32 v21, vcc, v13, v1, vcc
	v_lshlrev_b64 v[0:1], 2, v[8:9]
	v_mov_b32_e32 v12, s21
	v_add_co_u32_e32 v22, vcc, s20, v0
	v_addc_co_u32_e32 v23, vcc, v12, v1, vcc
	s_mov_b32 s30, s1
	s_mov_b64 s[8:9], 0
	s_mov_b32 s31, 0xc0c0400
	s_cselect_b32 s33, 1, 2
	s_mov_b32 s34, 0x4000c0c
	s_mov_b32 s35, 0xc0c0100
	s_waitcnt vmcnt(0)
	v_subrev_co_u32_e32 v0, vcc, s1, v4
	v_subbrev_co_u32_e32 v1, vcc, 0, v5, vcc
	v_subrev_co_u32_e32 v2, vcc, s1, v6
	v_cmp_lt_i64_e64 s[0:1], v[4:5], v[6:7]
	v_subbrev_co_u32_e32 v3, vcc, 0, v7, vcc
	s_branch .LBB89_13
.LBB89_12:                              ;   in Loop: Header=BB89_13 Depth=1
	s_or_b64 exec, exec, s[2:3]
	s_add_u32 s8, s8, 8
	v_mov_b32_e32 v4, s18
	s_addc_u32 s9, s9, 0
	v_mov_b32_e32 v5, s19
	v_cmp_lt_i64_e32 vcc, s[8:9], v[4:5]
	s_cbranch_vccz .LBB89_34
.LBB89_13:                              ; =>This Loop Header: Depth=1
                                        ;     Child Loop BB89_16 Depth 2
                                        ;       Child Loop BB89_20 Depth 3
	v_mov_b32_e32 v5, s9
	v_or_b32_e32 v4, s8, v14
	v_mov_b32_e32 v24, 0
	s_and_saveexec_b64 s[12:13], s[0:1]
	s_cbranch_execz .LBB89_22
; %bb.14:                               ;   in Loop: Header=BB89_13 Depth=1
	v_cmp_gt_i64_e32 vcc, s[18:19], v[4:5]
	v_mov_b32_e32 v7, s15
	v_add_co_u32_e64 v6, s[2:3], s14, v4
	v_mov_b32_e32 v9, v1
	v_addc_co_u32_e64 v7, s[2:3], v7, v5, s[2:3]
	v_mov_b32_e32 v24, 0
	s_mov_b64 s[20:21], 0
	v_mov_b32_e32 v8, v0
	s_branch .LBB89_16
.LBB89_15:                              ;   in Loop: Header=BB89_16 Depth=2
	s_or_b64 exec, exec, s[26:27]
	v_add_co_u32_e64 v8, s[2:3], 8, v8
	v_addc_co_u32_e64 v9, s[2:3], 0, v9, s[2:3]
	v_cmp_ge_i64_e64 s[2:3], v[8:9], v[2:3]
	s_or_b64 s[20:21], s[2:3], s[20:21]
	s_andn2_b64 exec, exec, s[20:21]
	s_cbranch_execz .LBB89_21
.LBB89_16:                              ;   Parent Loop BB89_13 Depth=1
                                        ; =>  This Loop Header: Depth=2
                                        ;       Child Loop BB89_20 Depth 3
	v_add_co_u32_e64 v10, s[2:3], v8, v14
	v_addc_co_u32_e64 v11, s[2:3], 0, v9, s[2:3]
	v_cmp_lt_i64_e64 s[2:3], v[10:11], v[2:3]
	v_mov_b32_e32 v12, 0
	v_mov_b32_e32 v13, 0
	;; [unrolled: 1-line block ×4, first 2 shown]
	s_and_saveexec_b64 s[4:5], s[2:3]
	s_cbranch_execz .LBB89_18
; %bb.17:                               ;   in Loop: Header=BB89_16 Depth=2
	v_lshlrev_b64 v[12:13], 3, v[10:11]
	v_mov_b32_e32 v25, s11
	v_add_co_u32_e64 v12, s[2:3], s10, v12
	v_addc_co_u32_e64 v13, s[2:3], v25, v13, s[2:3]
	v_lshlrev_b64 v[10:11], 2, v[10:11]
	global_load_dwordx2 v[12:13], v[12:13], off
	v_add_co_u32_e64 v10, s[2:3], v20, v10
	v_addc_co_u32_e64 v11, s[2:3], v21, v11, s[2:3]
	v_add_co_u32_e64 v27, s[2:3], s33, v10
	v_addc_co_u32_e64 v28, s[2:3], 0, v11, s[2:3]
	global_load_ubyte v25, v[10:11], off
	global_load_ubyte v26, v[27:28], off
	s_waitcnt vmcnt(2)
	v_subrev_co_u32_e64 v10, s[2:3], s30, v12
	v_subbrev_co_u32_e64 v11, s[2:3], 0, v13, s[2:3]
	v_lshlrev_b64 v[12:13], 1, v[10:11]
.LBB89_18:                              ;   in Loop: Header=BB89_16 Depth=2
	s_or_b64 exec, exec, s[4:5]
	v_lshl_or_b32 v10, v14, 3, v15
	ds_write_b64 v10, v[12:13]
	s_waitcnt vmcnt(1)
	ds_write_b8 v17, v25
	s_waitcnt vmcnt(0)
	ds_write_b8 v17, v26 offset:1
	s_waitcnt lgkmcnt(0)
	; wave barrier
	s_and_saveexec_b64 s[26:27], vcc
	s_cbranch_execz .LBB89_15
; %bb.19:                               ;   in Loop: Header=BB89_16 Depth=2
	s_mov_b32 s36, 0
	v_mov_b32_e32 v10, v15
.LBB89_20:                              ;   Parent Loop BB89_13 Depth=1
                                        ;     Parent Loop BB89_16 Depth=2
                                        ; =>    This Inner Loop Header: Depth=3
	ds_read_b128 v[25:28], v10
	v_mov_b32_e32 v13, s7
	v_add_u32_e32 v10, 16, v10
	s_waitcnt lgkmcnt(0)
	v_mad_u64_u32 v[11:12], s[2:3], v25, s6, v[6:7]
	v_mul_lo_u32 v29, v25, s7
	v_mul_lo_u32 v30, v26, s6
	v_mad_u64_u32 v[25:26], s[2:3], v27, s6, v[6:7]
	v_mul_lo_u32 v27, v27, s7
	v_mul_lo_u32 v28, v28, s6
	v_add3_u32 v12, v30, v12, v29
	v_add_co_u32_e64 v29, s[4:5], s6, v11
	v_add3_u32 v26, v28, v26, v27
	v_add_co_u32_e64 v27, s[2:3], s6, v25
	v_addc_co_u32_e64 v30, s[4:5], v12, v13, s[4:5]
	v_addc_co_u32_e64 v28, s[2:3], v26, v13, s[2:3]
	global_load_sbyte v13, v[11:12], off
	global_load_sbyte v31, v[25:26], off
	;; [unrolled: 1-line block ×4, first 2 shown]
	v_add_u32_e32 v11, s36, v16
	ds_read_u16 v12, v11
	ds_read_i8 v25, v11 offset:3
	ds_read_i8 v11, v11 offset:4
	s_add_i32 s36, s36, 6
	s_cmp_lg_u32 s36, 24
	s_waitcnt lgkmcnt(2)
	v_perm_b32 v12, v12, v12, s35
	s_waitcnt lgkmcnt(0)
	v_perm_b32 v11, v11, v25, s34
	v_or_b32_e32 v11, v11, v12
	s_waitcnt vmcnt(1)
	v_perm_b32 v12, v32, v13, s31
	s_waitcnt vmcnt(0)
	v_perm_b32 v13, v33, v31, s34
	v_or_b32_e32 v12, v13, v12
	v_dot4_i32_i8 v24, v11, v12, v24
	s_cbranch_scc1 .LBB89_20
	s_branch .LBB89_15
.LBB89_21:                              ;   in Loop: Header=BB89_13 Depth=1
	s_or_b64 exec, exec, s[20:21]
.LBB89_22:                              ;   in Loop: Header=BB89_13 Depth=1
	s_or_b64 exec, exec, s[12:13]
	v_cmp_gt_i64_e32 vcc, s[18:19], v[4:5]
	s_and_saveexec_b64 s[2:3], vcc
	s_cbranch_execz .LBB89_12
; %bb.23:                               ;   in Loop: Header=BB89_13 Depth=1
	s_mov_b64 s[4:5], -1
	s_and_b64 vcc, exec, s[16:17]
	s_cbranch_vccz .LBB89_29
; %bb.24:                               ;   in Loop: Header=BB89_13 Depth=1
	s_and_b64 vcc, exec, s[24:25]
	s_cbranch_vccz .LBB89_26
; %bb.25:                               ;   in Loop: Header=BB89_13 Depth=1
	v_lshlrev_b64 v[6:7], 2, v[4:5]
	v_mul_lo_u32 v8, v24, s28
	v_add_co_u32_e32 v6, vcc, v22, v6
	v_addc_co_u32_e32 v7, vcc, v23, v7, vcc
	global_load_dword v9, v[6:7], off
	s_waitcnt vmcnt(0)
	v_mad_u64_u32 v[8:9], s[4:5], v9, s29, v[8:9]
	s_mov_b64 s[4:5], 0
	global_store_dword v[6:7], v8, off
.LBB89_26:                              ;   in Loop: Header=BB89_13 Depth=1
	s_andn2_b64 vcc, exec, s[4:5]
	s_cbranch_vccnz .LBB89_28
; %bb.27:                               ;   in Loop: Header=BB89_13 Depth=1
	v_mul_lo_u32 v8, v5, s22
	v_mul_lo_u32 v9, v4, s23
	v_mad_u64_u32 v[6:7], s[4:5], v4, s22, 0
	v_add3_u32 v7, v7, v9, v8
	v_lshlrev_b64 v[6:7], 2, v[6:7]
	v_mul_lo_u32 v8, v24, s28
	v_add_co_u32_e32 v6, vcc, v18, v6
	v_addc_co_u32_e32 v7, vcc, v19, v7, vcc
	global_load_dword v9, v[6:7], off
	s_waitcnt vmcnt(0)
	v_mad_u64_u32 v[8:9], s[4:5], v9, s29, v[8:9]
	global_store_dword v[6:7], v8, off
.LBB89_28:                              ;   in Loop: Header=BB89_13 Depth=1
	s_mov_b64 s[4:5], 0
.LBB89_29:                              ;   in Loop: Header=BB89_13 Depth=1
	s_andn2_b64 vcc, exec, s[4:5]
	s_cbranch_vccnz .LBB89_12
; %bb.30:                               ;   in Loop: Header=BB89_13 Depth=1
	v_mul_lo_u32 v6, v24, s28
	s_mov_b64 s[4:5], -1
	s_and_b64 vcc, exec, s[24:25]
	s_cbranch_vccz .LBB89_32
; %bb.31:                               ;   in Loop: Header=BB89_13 Depth=1
	v_lshlrev_b64 v[7:8], 2, v[4:5]
	s_mov_b64 s[4:5], 0
	v_add_co_u32_e32 v7, vcc, v22, v7
	v_addc_co_u32_e32 v8, vcc, v23, v8, vcc
	global_store_dword v[7:8], v6, off
.LBB89_32:                              ;   in Loop: Header=BB89_13 Depth=1
	s_andn2_b64 vcc, exec, s[4:5]
	s_cbranch_vccnz .LBB89_12
; %bb.33:                               ;   in Loop: Header=BB89_13 Depth=1
	v_mul_lo_u32 v7, v5, s22
	v_mul_lo_u32 v8, v4, s23
	v_mad_u64_u32 v[4:5], s[4:5], v4, s22, 0
	v_add3_u32 v5, v5, v8, v7
	v_lshlrev_b64 v[4:5], 2, v[4:5]
	v_add_co_u32_e32 v4, vcc, v18, v4
	v_addc_co_u32_e32 v5, vcc, v19, v5, vcc
	global_store_dword v[4:5], v6, off
	s_branch .LBB89_12
.LBB89_34:
	s_endpgm
	.section	.rodata,"a",@progbits
	.p2align	6, 0x0
	.amdhsa_kernel _ZN9rocsparseL29bsrmmnt_small_blockdim_kernelILj64ELj8ELj2EllaaiiEEv20rocsparse_direction_T3_S2_llNS_24const_host_device_scalarIT7_EEPKT2_PKS2_PKT4_PKT5_llS5_PT6_ll16rocsparse_order_21rocsparse_index_base_b
		.amdhsa_group_segment_fixed_size 704
		.amdhsa_private_segment_fixed_size 0
		.amdhsa_kernarg_size 400
		.amdhsa_user_sgpr_count 6
		.amdhsa_user_sgpr_private_segment_buffer 1
		.amdhsa_user_sgpr_dispatch_ptr 0
		.amdhsa_user_sgpr_queue_ptr 0
		.amdhsa_user_sgpr_kernarg_segment_ptr 1
		.amdhsa_user_sgpr_dispatch_id 0
		.amdhsa_user_sgpr_flat_scratch_init 0
		.amdhsa_user_sgpr_private_segment_size 0
		.amdhsa_uses_dynamic_stack 0
		.amdhsa_system_sgpr_private_segment_wavefront_offset 0
		.amdhsa_system_sgpr_workgroup_id_x 1
		.amdhsa_system_sgpr_workgroup_id_y 0
		.amdhsa_system_sgpr_workgroup_id_z 0
		.amdhsa_system_sgpr_workgroup_info 0
		.amdhsa_system_vgpr_workitem_id 0
		.amdhsa_next_free_vgpr 34
		.amdhsa_next_free_sgpr 37
		.amdhsa_reserve_vcc 1
		.amdhsa_reserve_flat_scratch 0
		.amdhsa_float_round_mode_32 0
		.amdhsa_float_round_mode_16_64 0
		.amdhsa_float_denorm_mode_32 3
		.amdhsa_float_denorm_mode_16_64 3
		.amdhsa_dx10_clamp 1
		.amdhsa_ieee_mode 1
		.amdhsa_fp16_overflow 0
		.amdhsa_exception_fp_ieee_invalid_op 0
		.amdhsa_exception_fp_denorm_src 0
		.amdhsa_exception_fp_ieee_div_zero 0
		.amdhsa_exception_fp_ieee_overflow 0
		.amdhsa_exception_fp_ieee_underflow 0
		.amdhsa_exception_fp_ieee_inexact 0
		.amdhsa_exception_int_div_zero 0
	.end_amdhsa_kernel
	.section	.text._ZN9rocsparseL29bsrmmnt_small_blockdim_kernelILj64ELj8ELj2EllaaiiEEv20rocsparse_direction_T3_S2_llNS_24const_host_device_scalarIT7_EEPKT2_PKS2_PKT4_PKT5_llS5_PT6_ll16rocsparse_order_21rocsparse_index_base_b,"axG",@progbits,_ZN9rocsparseL29bsrmmnt_small_blockdim_kernelILj64ELj8ELj2EllaaiiEEv20rocsparse_direction_T3_S2_llNS_24const_host_device_scalarIT7_EEPKT2_PKS2_PKT4_PKT5_llS5_PT6_ll16rocsparse_order_21rocsparse_index_base_b,comdat
.Lfunc_end89:
	.size	_ZN9rocsparseL29bsrmmnt_small_blockdim_kernelILj64ELj8ELj2EllaaiiEEv20rocsparse_direction_T3_S2_llNS_24const_host_device_scalarIT7_EEPKT2_PKS2_PKT4_PKT5_llS5_PT6_ll16rocsparse_order_21rocsparse_index_base_b, .Lfunc_end89-_ZN9rocsparseL29bsrmmnt_small_blockdim_kernelILj64ELj8ELj2EllaaiiEEv20rocsparse_direction_T3_S2_llNS_24const_host_device_scalarIT7_EEPKT2_PKS2_PKT4_PKT5_llS5_PT6_ll16rocsparse_order_21rocsparse_index_base_b
                                        ; -- End function
	.set _ZN9rocsparseL29bsrmmnt_small_blockdim_kernelILj64ELj8ELj2EllaaiiEEv20rocsparse_direction_T3_S2_llNS_24const_host_device_scalarIT7_EEPKT2_PKS2_PKT4_PKT5_llS5_PT6_ll16rocsparse_order_21rocsparse_index_base_b.num_vgpr, 34
	.set _ZN9rocsparseL29bsrmmnt_small_blockdim_kernelILj64ELj8ELj2EllaaiiEEv20rocsparse_direction_T3_S2_llNS_24const_host_device_scalarIT7_EEPKT2_PKS2_PKT4_PKT5_llS5_PT6_ll16rocsparse_order_21rocsparse_index_base_b.num_agpr, 0
	.set _ZN9rocsparseL29bsrmmnt_small_blockdim_kernelILj64ELj8ELj2EllaaiiEEv20rocsparse_direction_T3_S2_llNS_24const_host_device_scalarIT7_EEPKT2_PKS2_PKT4_PKT5_llS5_PT6_ll16rocsparse_order_21rocsparse_index_base_b.numbered_sgpr, 37
	.set _ZN9rocsparseL29bsrmmnt_small_blockdim_kernelILj64ELj8ELj2EllaaiiEEv20rocsparse_direction_T3_S2_llNS_24const_host_device_scalarIT7_EEPKT2_PKS2_PKT4_PKT5_llS5_PT6_ll16rocsparse_order_21rocsparse_index_base_b.num_named_barrier, 0
	.set _ZN9rocsparseL29bsrmmnt_small_blockdim_kernelILj64ELj8ELj2EllaaiiEEv20rocsparse_direction_T3_S2_llNS_24const_host_device_scalarIT7_EEPKT2_PKS2_PKT4_PKT5_llS5_PT6_ll16rocsparse_order_21rocsparse_index_base_b.private_seg_size, 0
	.set _ZN9rocsparseL29bsrmmnt_small_blockdim_kernelILj64ELj8ELj2EllaaiiEEv20rocsparse_direction_T3_S2_llNS_24const_host_device_scalarIT7_EEPKT2_PKS2_PKT4_PKT5_llS5_PT6_ll16rocsparse_order_21rocsparse_index_base_b.uses_vcc, 1
	.set _ZN9rocsparseL29bsrmmnt_small_blockdim_kernelILj64ELj8ELj2EllaaiiEEv20rocsparse_direction_T3_S2_llNS_24const_host_device_scalarIT7_EEPKT2_PKS2_PKT4_PKT5_llS5_PT6_ll16rocsparse_order_21rocsparse_index_base_b.uses_flat_scratch, 0
	.set _ZN9rocsparseL29bsrmmnt_small_blockdim_kernelILj64ELj8ELj2EllaaiiEEv20rocsparse_direction_T3_S2_llNS_24const_host_device_scalarIT7_EEPKT2_PKS2_PKT4_PKT5_llS5_PT6_ll16rocsparse_order_21rocsparse_index_base_b.has_dyn_sized_stack, 0
	.set _ZN9rocsparseL29bsrmmnt_small_blockdim_kernelILj64ELj8ELj2EllaaiiEEv20rocsparse_direction_T3_S2_llNS_24const_host_device_scalarIT7_EEPKT2_PKS2_PKT4_PKT5_llS5_PT6_ll16rocsparse_order_21rocsparse_index_base_b.has_recursion, 0
	.set _ZN9rocsparseL29bsrmmnt_small_blockdim_kernelILj64ELj8ELj2EllaaiiEEv20rocsparse_direction_T3_S2_llNS_24const_host_device_scalarIT7_EEPKT2_PKS2_PKT4_PKT5_llS5_PT6_ll16rocsparse_order_21rocsparse_index_base_b.has_indirect_call, 0
	.section	.AMDGPU.csdata,"",@progbits
; Kernel info:
; codeLenInByte = 1460
; TotalNumSgprs: 41
; NumVgprs: 34
; ScratchSize: 0
; MemoryBound: 0
; FloatMode: 240
; IeeeMode: 1
; LDSByteSize: 704 bytes/workgroup (compile time only)
; SGPRBlocks: 5
; VGPRBlocks: 8
; NumSGPRsForWavesPerEU: 41
; NumVGPRsForWavesPerEU: 34
; Occupancy: 7
; WaveLimiterHint : 1
; COMPUTE_PGM_RSRC2:SCRATCH_EN: 0
; COMPUTE_PGM_RSRC2:USER_SGPR: 6
; COMPUTE_PGM_RSRC2:TRAP_HANDLER: 0
; COMPUTE_PGM_RSRC2:TGID_X_EN: 1
; COMPUTE_PGM_RSRC2:TGID_Y_EN: 0
; COMPUTE_PGM_RSRC2:TGID_Z_EN: 0
; COMPUTE_PGM_RSRC2:TIDIG_COMP_CNT: 0
	.section	.text._ZN9rocsparseL29bsrmmnt_small_blockdim_kernelILj64ELj16ELj2EllaaiiEEv20rocsparse_direction_T3_S2_llNS_24const_host_device_scalarIT7_EEPKT2_PKS2_PKT4_PKT5_llS5_PT6_ll16rocsparse_order_21rocsparse_index_base_b,"axG",@progbits,_ZN9rocsparseL29bsrmmnt_small_blockdim_kernelILj64ELj16ELj2EllaaiiEEv20rocsparse_direction_T3_S2_llNS_24const_host_device_scalarIT7_EEPKT2_PKS2_PKT4_PKT5_llS5_PT6_ll16rocsparse_order_21rocsparse_index_base_b,comdat
	.globl	_ZN9rocsparseL29bsrmmnt_small_blockdim_kernelILj64ELj16ELj2EllaaiiEEv20rocsparse_direction_T3_S2_llNS_24const_host_device_scalarIT7_EEPKT2_PKS2_PKT4_PKT5_llS5_PT6_ll16rocsparse_order_21rocsparse_index_base_b ; -- Begin function _ZN9rocsparseL29bsrmmnt_small_blockdim_kernelILj64ELj16ELj2EllaaiiEEv20rocsparse_direction_T3_S2_llNS_24const_host_device_scalarIT7_EEPKT2_PKS2_PKT4_PKT5_llS5_PT6_ll16rocsparse_order_21rocsparse_index_base_b
	.p2align	8
	.type	_ZN9rocsparseL29bsrmmnt_small_blockdim_kernelILj64ELj16ELj2EllaaiiEEv20rocsparse_direction_T3_S2_llNS_24const_host_device_scalarIT7_EEPKT2_PKS2_PKT4_PKT5_llS5_PT6_ll16rocsparse_order_21rocsparse_index_base_b,@function
_ZN9rocsparseL29bsrmmnt_small_blockdim_kernelILj64ELj16ELj2EllaaiiEEv20rocsparse_direction_T3_S2_llNS_24const_host_device_scalarIT7_EEPKT2_PKS2_PKT4_PKT5_llS5_PT6_ll16rocsparse_order_21rocsparse_index_base_b: ; @_ZN9rocsparseL29bsrmmnt_small_blockdim_kernelILj64ELj16ELj2EllaaiiEEv20rocsparse_direction_T3_S2_llNS_24const_host_device_scalarIT7_EEPKT2_PKS2_PKT4_PKT5_llS5_PT6_ll16rocsparse_order_21rocsparse_index_base_b
; %bb.0:
	s_load_dwordx4 s[0:3], s[4:5], 0x80
	s_load_dwordx2 s[10:11], s[4:5], 0x28
	s_mov_b64 s[12:13], -1
                                        ; implicit-def: $sgpr28
	s_waitcnt lgkmcnt(0)
	s_bitcmp1_b32 s2, 0
	s_cselect_b64 s[2:3], -1, 0
	s_xor_b64 s[8:9], s[2:3], -1
	s_and_b64 vcc, exec, s[8:9]
	s_cbranch_vccnz .LBB90_4
; %bb.1:
	s_load_dwordx2 s[2:3], s[4:5], 0x60
	s_andn2_b64 vcc, exec, s[12:13]
	s_cbranch_vccz .LBB90_5
.LBB90_2:
	s_and_b64 vcc, exec, s[8:9]
	s_cbranch_vccz .LBB90_6
.LBB90_3:
	s_waitcnt lgkmcnt(0)
	s_load_dword s29, s[2:3], 0x0
	s_cbranch_execz .LBB90_7
	s_branch .LBB90_8
.LBB90_4:
	s_load_dword s28, s[10:11], 0x0
	s_load_dwordx2 s[2:3], s[4:5], 0x60
	s_cbranch_execnz .LBB90_2
.LBB90_5:
	s_waitcnt lgkmcnt(0)
	s_mov_b32 s28, s10
	s_and_b64 vcc, exec, s[8:9]
	s_cbranch_vccnz .LBB90_3
.LBB90_6:
                                        ; implicit-def: $sgpr29
.LBB90_7:
	s_waitcnt lgkmcnt(0)
	s_mov_b32 s29, s2
.LBB90_8:
	s_waitcnt lgkmcnt(0)
	s_cmp_eq_u32 s28, 0
	s_cselect_b64 s[2:3], -1, 0
	s_cmp_eq_u32 s29, 1
	s_cselect_b64 s[8:9], -1, 0
	s_and_b64 s[2:3], s[2:3], s[8:9]
	s_and_b64 vcc, exec, s[2:3]
	s_cbranch_vccnz .LBB90_34
; %bb.9:
	s_load_dword s2, s[4:5], 0x9c
	s_load_dwordx4 s[16:19], s[4:5], 0x8
	v_mov_b32_e32 v2, 0
	s_waitcnt lgkmcnt(0)
	s_and_b32 s2, s2, 0xffff
	s_mul_i32 s6, s6, s2
	v_add_u32_e32 v3, s6, v0
	v_lshrrev_b32_e32 v1, 5, v3
	v_cmp_gt_i64_e32 vcc, s[16:17], v[1:2]
	s_and_saveexec_b64 s[2:3], vcc
	s_cbranch_execz .LBB90_34
; %bb.10:
	v_cmp_lt_i64_e64 s[2:3], s[18:19], 1
	s_and_b64 vcc, exec, s[2:3]
	s_cbranch_vccnz .LBB90_34
; %bb.11:
	s_load_dwordx8 s[8:15], s[4:5], 0x30
	v_lshlrev_b32_e32 v1, 3, v1
	v_lshrrev_b32_e32 v10, 4, v3
	v_and_b32_e32 v14, 15, v0
	v_lshrrev_b32_e32 v0, 4, v0
	s_waitcnt lgkmcnt(0)
	global_load_dwordx4 v[4:7], v1, s[8:9]
	s_load_dword s2, s[4:5], 0x0
	s_load_dwordx4 s[20:23], s[4:5], 0x68
	s_load_dwordx2 s[6:7], s[4:5], 0x50
	v_lshlrev_b32_e32 v15, 7, v0
	v_mul_u32_u24_e32 v0, 48, v0
	s_waitcnt lgkmcnt(0)
	s_cmp_eq_u32 s2, 0
	v_mad_u64_u32 v[8:9], s[2:3], v10, s22, 0
	v_lshlrev_b32_e32 v11, 2, v10
	v_or_b32_e32 v16, 0x200, v0
	v_mov_b32_e32 v0, s21
	s_cselect_b64 s[2:3], -1, 0
	v_add_co_u32_e32 v18, vcc, s20, v11
	v_bfe_u32 v1, v3, 4, 1
	v_mov_b32_e32 v2, 0
	s_cmp_lg_u32 s29, 0
	v_addc_co_u32_e32 v19, vcc, 0, v0, vcc
	v_cndmask_b32_e64 v0, 0, 1, s[2:3]
	v_mul_u32_u24_e32 v3, 3, v14
	s_cselect_b64 s[16:17], -1, 0
	s_cmp_lg_u32 s0, 1
	v_lshlrev_b64 v[0:1], v0, v[1:2]
	v_mov_b32_e32 v2, v9
	v_add_u32_e32 v17, v16, v3
	s_cselect_b64 s[24:25], -1, 0
	s_and_b64 s[2:3], s[2:3], exec
	v_mad_u64_u32 v[2:3], s[2:3], v10, s23, v[2:3]
	v_mov_b32_e32 v13, s13
	v_add_co_u32_e32 v20, vcc, s12, v0
	v_mov_b32_e32 v9, v2
	v_addc_co_u32_e32 v21, vcc, v13, v1, vcc
	v_lshlrev_b64 v[0:1], 2, v[8:9]
	v_mov_b32_e32 v12, s21
	v_add_co_u32_e32 v22, vcc, s20, v0
	v_addc_co_u32_e32 v23, vcc, v12, v1, vcc
	s_mov_b32 s30, s1
	s_mov_b64 s[8:9], 0
	s_mov_b32 s31, 0xc0c0400
	s_cselect_b32 s33, 1, 2
	s_mov_b32 s34, 0x4000c0c
	s_mov_b32 s35, 0xc0c0100
	s_waitcnt vmcnt(0)
	v_subrev_co_u32_e32 v0, vcc, s1, v4
	v_subbrev_co_u32_e32 v1, vcc, 0, v5, vcc
	v_subrev_co_u32_e32 v2, vcc, s1, v6
	v_cmp_lt_i64_e64 s[0:1], v[4:5], v[6:7]
	v_subbrev_co_u32_e32 v3, vcc, 0, v7, vcc
	s_branch .LBB90_13
.LBB90_12:                              ;   in Loop: Header=BB90_13 Depth=1
	s_or_b64 exec, exec, s[2:3]
	s_add_u32 s8, s8, 16
	v_mov_b32_e32 v4, s18
	s_addc_u32 s9, s9, 0
	v_mov_b32_e32 v5, s19
	v_cmp_lt_i64_e32 vcc, s[8:9], v[4:5]
	s_cbranch_vccz .LBB90_34
.LBB90_13:                              ; =>This Loop Header: Depth=1
                                        ;     Child Loop BB90_16 Depth 2
                                        ;       Child Loop BB90_20 Depth 3
	v_mov_b32_e32 v5, s9
	v_or_b32_e32 v4, s8, v14
	v_mov_b32_e32 v24, 0
	s_and_saveexec_b64 s[12:13], s[0:1]
	s_cbranch_execz .LBB90_22
; %bb.14:                               ;   in Loop: Header=BB90_13 Depth=1
	v_cmp_gt_i64_e32 vcc, s[18:19], v[4:5]
	v_mov_b32_e32 v7, s15
	v_add_co_u32_e64 v6, s[2:3], s14, v4
	v_mov_b32_e32 v9, v1
	v_addc_co_u32_e64 v7, s[2:3], v7, v5, s[2:3]
	v_mov_b32_e32 v24, 0
	s_mov_b64 s[20:21], 0
	v_mov_b32_e32 v8, v0
	s_branch .LBB90_16
.LBB90_15:                              ;   in Loop: Header=BB90_16 Depth=2
	s_or_b64 exec, exec, s[26:27]
	v_add_co_u32_e64 v8, s[2:3], 16, v8
	v_addc_co_u32_e64 v9, s[2:3], 0, v9, s[2:3]
	v_cmp_ge_i64_e64 s[2:3], v[8:9], v[2:3]
	s_or_b64 s[20:21], s[2:3], s[20:21]
	s_andn2_b64 exec, exec, s[20:21]
	s_cbranch_execz .LBB90_21
.LBB90_16:                              ;   Parent Loop BB90_13 Depth=1
                                        ; =>  This Loop Header: Depth=2
                                        ;       Child Loop BB90_20 Depth 3
	v_add_co_u32_e64 v10, s[2:3], v8, v14
	v_addc_co_u32_e64 v11, s[2:3], 0, v9, s[2:3]
	v_cmp_lt_i64_e64 s[2:3], v[10:11], v[2:3]
	v_mov_b32_e32 v12, 0
	v_mov_b32_e32 v13, 0
	;; [unrolled: 1-line block ×4, first 2 shown]
	s_and_saveexec_b64 s[4:5], s[2:3]
	s_cbranch_execz .LBB90_18
; %bb.17:                               ;   in Loop: Header=BB90_16 Depth=2
	v_lshlrev_b64 v[12:13], 3, v[10:11]
	v_mov_b32_e32 v25, s11
	v_add_co_u32_e64 v12, s[2:3], s10, v12
	v_addc_co_u32_e64 v13, s[2:3], v25, v13, s[2:3]
	v_lshlrev_b64 v[10:11], 2, v[10:11]
	global_load_dwordx2 v[12:13], v[12:13], off
	v_add_co_u32_e64 v10, s[2:3], v20, v10
	v_addc_co_u32_e64 v11, s[2:3], v21, v11, s[2:3]
	v_add_co_u32_e64 v27, s[2:3], s33, v10
	v_addc_co_u32_e64 v28, s[2:3], 0, v11, s[2:3]
	global_load_ubyte v25, v[10:11], off
	global_load_ubyte v26, v[27:28], off
	s_waitcnt vmcnt(2)
	v_subrev_co_u32_e64 v10, s[2:3], s30, v12
	v_subbrev_co_u32_e64 v11, s[2:3], 0, v13, s[2:3]
	v_lshlrev_b64 v[12:13], 1, v[10:11]
.LBB90_18:                              ;   in Loop: Header=BB90_16 Depth=2
	s_or_b64 exec, exec, s[4:5]
	v_lshl_or_b32 v10, v14, 3, v15
	ds_write_b64 v10, v[12:13]
	s_waitcnt vmcnt(1)
	ds_write_b8 v17, v25
	s_waitcnt vmcnt(0)
	ds_write_b8 v17, v26 offset:1
	s_waitcnt lgkmcnt(0)
	; wave barrier
	s_and_saveexec_b64 s[26:27], vcc
	s_cbranch_execz .LBB90_15
; %bb.19:                               ;   in Loop: Header=BB90_16 Depth=2
	s_mov_b32 s36, 0
	v_mov_b32_e32 v10, v15
.LBB90_20:                              ;   Parent Loop BB90_13 Depth=1
                                        ;     Parent Loop BB90_16 Depth=2
                                        ; =>    This Inner Loop Header: Depth=3
	ds_read_b128 v[25:28], v10
	v_mov_b32_e32 v13, s7
	v_add_u32_e32 v10, 16, v10
	s_waitcnt lgkmcnt(0)
	v_mad_u64_u32 v[11:12], s[2:3], v25, s6, v[6:7]
	v_mul_lo_u32 v29, v25, s7
	v_mul_lo_u32 v30, v26, s6
	v_mad_u64_u32 v[25:26], s[2:3], v27, s6, v[6:7]
	v_mul_lo_u32 v27, v27, s7
	v_mul_lo_u32 v28, v28, s6
	v_add3_u32 v12, v30, v12, v29
	v_add_co_u32_e64 v29, s[4:5], s6, v11
	v_add3_u32 v26, v28, v26, v27
	v_add_co_u32_e64 v27, s[2:3], s6, v25
	v_addc_co_u32_e64 v30, s[4:5], v12, v13, s[4:5]
	v_addc_co_u32_e64 v28, s[2:3], v26, v13, s[2:3]
	global_load_sbyte v13, v[11:12], off
	global_load_sbyte v31, v[25:26], off
	;; [unrolled: 1-line block ×4, first 2 shown]
	v_add_u32_e32 v11, s36, v16
	ds_read_u16 v12, v11
	ds_read_i8 v25, v11 offset:3
	ds_read_i8 v11, v11 offset:4
	s_add_i32 s36, s36, 6
	s_cmp_lg_u32 s36, 48
	s_waitcnt lgkmcnt(2)
	v_perm_b32 v12, v12, v12, s35
	s_waitcnt lgkmcnt(0)
	v_perm_b32 v11, v11, v25, s34
	v_or_b32_e32 v11, v11, v12
	s_waitcnt vmcnt(1)
	v_perm_b32 v12, v32, v13, s31
	s_waitcnt vmcnt(0)
	v_perm_b32 v13, v33, v31, s34
	v_or_b32_e32 v12, v13, v12
	v_dot4_i32_i8 v24, v11, v12, v24
	s_cbranch_scc1 .LBB90_20
	s_branch .LBB90_15
.LBB90_21:                              ;   in Loop: Header=BB90_13 Depth=1
	s_or_b64 exec, exec, s[20:21]
.LBB90_22:                              ;   in Loop: Header=BB90_13 Depth=1
	s_or_b64 exec, exec, s[12:13]
	v_cmp_gt_i64_e32 vcc, s[18:19], v[4:5]
	s_and_saveexec_b64 s[2:3], vcc
	s_cbranch_execz .LBB90_12
; %bb.23:                               ;   in Loop: Header=BB90_13 Depth=1
	s_mov_b64 s[4:5], -1
	s_and_b64 vcc, exec, s[16:17]
	s_cbranch_vccz .LBB90_29
; %bb.24:                               ;   in Loop: Header=BB90_13 Depth=1
	s_and_b64 vcc, exec, s[24:25]
	s_cbranch_vccz .LBB90_26
; %bb.25:                               ;   in Loop: Header=BB90_13 Depth=1
	v_lshlrev_b64 v[6:7], 2, v[4:5]
	v_mul_lo_u32 v8, v24, s28
	v_add_co_u32_e32 v6, vcc, v22, v6
	v_addc_co_u32_e32 v7, vcc, v23, v7, vcc
	global_load_dword v9, v[6:7], off
	s_waitcnt vmcnt(0)
	v_mad_u64_u32 v[8:9], s[4:5], v9, s29, v[8:9]
	s_mov_b64 s[4:5], 0
	global_store_dword v[6:7], v8, off
.LBB90_26:                              ;   in Loop: Header=BB90_13 Depth=1
	s_andn2_b64 vcc, exec, s[4:5]
	s_cbranch_vccnz .LBB90_28
; %bb.27:                               ;   in Loop: Header=BB90_13 Depth=1
	v_mul_lo_u32 v8, v5, s22
	v_mul_lo_u32 v9, v4, s23
	v_mad_u64_u32 v[6:7], s[4:5], v4, s22, 0
	v_add3_u32 v7, v7, v9, v8
	v_lshlrev_b64 v[6:7], 2, v[6:7]
	v_mul_lo_u32 v8, v24, s28
	v_add_co_u32_e32 v6, vcc, v18, v6
	v_addc_co_u32_e32 v7, vcc, v19, v7, vcc
	global_load_dword v9, v[6:7], off
	s_waitcnt vmcnt(0)
	v_mad_u64_u32 v[8:9], s[4:5], v9, s29, v[8:9]
	global_store_dword v[6:7], v8, off
.LBB90_28:                              ;   in Loop: Header=BB90_13 Depth=1
	s_mov_b64 s[4:5], 0
.LBB90_29:                              ;   in Loop: Header=BB90_13 Depth=1
	s_andn2_b64 vcc, exec, s[4:5]
	s_cbranch_vccnz .LBB90_12
; %bb.30:                               ;   in Loop: Header=BB90_13 Depth=1
	v_mul_lo_u32 v6, v24, s28
	s_mov_b64 s[4:5], -1
	s_and_b64 vcc, exec, s[24:25]
	s_cbranch_vccz .LBB90_32
; %bb.31:                               ;   in Loop: Header=BB90_13 Depth=1
	v_lshlrev_b64 v[7:8], 2, v[4:5]
	s_mov_b64 s[4:5], 0
	v_add_co_u32_e32 v7, vcc, v22, v7
	v_addc_co_u32_e32 v8, vcc, v23, v8, vcc
	global_store_dword v[7:8], v6, off
.LBB90_32:                              ;   in Loop: Header=BB90_13 Depth=1
	s_andn2_b64 vcc, exec, s[4:5]
	s_cbranch_vccnz .LBB90_12
; %bb.33:                               ;   in Loop: Header=BB90_13 Depth=1
	v_mul_lo_u32 v7, v5, s22
	v_mul_lo_u32 v8, v4, s23
	v_mad_u64_u32 v[4:5], s[4:5], v4, s22, 0
	v_add3_u32 v5, v5, v8, v7
	v_lshlrev_b64 v[4:5], 2, v[4:5]
	v_add_co_u32_e32 v4, vcc, v18, v4
	v_addc_co_u32_e32 v5, vcc, v19, v5, vcc
	global_store_dword v[4:5], v6, off
	s_branch .LBB90_12
.LBB90_34:
	s_endpgm
	.section	.rodata,"a",@progbits
	.p2align	6, 0x0
	.amdhsa_kernel _ZN9rocsparseL29bsrmmnt_small_blockdim_kernelILj64ELj16ELj2EllaaiiEEv20rocsparse_direction_T3_S2_llNS_24const_host_device_scalarIT7_EEPKT2_PKS2_PKT4_PKT5_llS5_PT6_ll16rocsparse_order_21rocsparse_index_base_b
		.amdhsa_group_segment_fixed_size 704
		.amdhsa_private_segment_fixed_size 0
		.amdhsa_kernarg_size 400
		.amdhsa_user_sgpr_count 6
		.amdhsa_user_sgpr_private_segment_buffer 1
		.amdhsa_user_sgpr_dispatch_ptr 0
		.amdhsa_user_sgpr_queue_ptr 0
		.amdhsa_user_sgpr_kernarg_segment_ptr 1
		.amdhsa_user_sgpr_dispatch_id 0
		.amdhsa_user_sgpr_flat_scratch_init 0
		.amdhsa_user_sgpr_private_segment_size 0
		.amdhsa_uses_dynamic_stack 0
		.amdhsa_system_sgpr_private_segment_wavefront_offset 0
		.amdhsa_system_sgpr_workgroup_id_x 1
		.amdhsa_system_sgpr_workgroup_id_y 0
		.amdhsa_system_sgpr_workgroup_id_z 0
		.amdhsa_system_sgpr_workgroup_info 0
		.amdhsa_system_vgpr_workitem_id 0
		.amdhsa_next_free_vgpr 34
		.amdhsa_next_free_sgpr 37
		.amdhsa_reserve_vcc 1
		.amdhsa_reserve_flat_scratch 0
		.amdhsa_float_round_mode_32 0
		.amdhsa_float_round_mode_16_64 0
		.amdhsa_float_denorm_mode_32 3
		.amdhsa_float_denorm_mode_16_64 3
		.amdhsa_dx10_clamp 1
		.amdhsa_ieee_mode 1
		.amdhsa_fp16_overflow 0
		.amdhsa_exception_fp_ieee_invalid_op 0
		.amdhsa_exception_fp_denorm_src 0
		.amdhsa_exception_fp_ieee_div_zero 0
		.amdhsa_exception_fp_ieee_overflow 0
		.amdhsa_exception_fp_ieee_underflow 0
		.amdhsa_exception_fp_ieee_inexact 0
		.amdhsa_exception_int_div_zero 0
	.end_amdhsa_kernel
	.section	.text._ZN9rocsparseL29bsrmmnt_small_blockdim_kernelILj64ELj16ELj2EllaaiiEEv20rocsparse_direction_T3_S2_llNS_24const_host_device_scalarIT7_EEPKT2_PKS2_PKT4_PKT5_llS5_PT6_ll16rocsparse_order_21rocsparse_index_base_b,"axG",@progbits,_ZN9rocsparseL29bsrmmnt_small_blockdim_kernelILj64ELj16ELj2EllaaiiEEv20rocsparse_direction_T3_S2_llNS_24const_host_device_scalarIT7_EEPKT2_PKS2_PKT4_PKT5_llS5_PT6_ll16rocsparse_order_21rocsparse_index_base_b,comdat
.Lfunc_end90:
	.size	_ZN9rocsparseL29bsrmmnt_small_blockdim_kernelILj64ELj16ELj2EllaaiiEEv20rocsparse_direction_T3_S2_llNS_24const_host_device_scalarIT7_EEPKT2_PKS2_PKT4_PKT5_llS5_PT6_ll16rocsparse_order_21rocsparse_index_base_b, .Lfunc_end90-_ZN9rocsparseL29bsrmmnt_small_blockdim_kernelILj64ELj16ELj2EllaaiiEEv20rocsparse_direction_T3_S2_llNS_24const_host_device_scalarIT7_EEPKT2_PKS2_PKT4_PKT5_llS5_PT6_ll16rocsparse_order_21rocsparse_index_base_b
                                        ; -- End function
	.set _ZN9rocsparseL29bsrmmnt_small_blockdim_kernelILj64ELj16ELj2EllaaiiEEv20rocsparse_direction_T3_S2_llNS_24const_host_device_scalarIT7_EEPKT2_PKS2_PKT4_PKT5_llS5_PT6_ll16rocsparse_order_21rocsparse_index_base_b.num_vgpr, 34
	.set _ZN9rocsparseL29bsrmmnt_small_blockdim_kernelILj64ELj16ELj2EllaaiiEEv20rocsparse_direction_T3_S2_llNS_24const_host_device_scalarIT7_EEPKT2_PKS2_PKT4_PKT5_llS5_PT6_ll16rocsparse_order_21rocsparse_index_base_b.num_agpr, 0
	.set _ZN9rocsparseL29bsrmmnt_small_blockdim_kernelILj64ELj16ELj2EllaaiiEEv20rocsparse_direction_T3_S2_llNS_24const_host_device_scalarIT7_EEPKT2_PKS2_PKT4_PKT5_llS5_PT6_ll16rocsparse_order_21rocsparse_index_base_b.numbered_sgpr, 37
	.set _ZN9rocsparseL29bsrmmnt_small_blockdim_kernelILj64ELj16ELj2EllaaiiEEv20rocsparse_direction_T3_S2_llNS_24const_host_device_scalarIT7_EEPKT2_PKS2_PKT4_PKT5_llS5_PT6_ll16rocsparse_order_21rocsparse_index_base_b.num_named_barrier, 0
	.set _ZN9rocsparseL29bsrmmnt_small_blockdim_kernelILj64ELj16ELj2EllaaiiEEv20rocsparse_direction_T3_S2_llNS_24const_host_device_scalarIT7_EEPKT2_PKS2_PKT4_PKT5_llS5_PT6_ll16rocsparse_order_21rocsparse_index_base_b.private_seg_size, 0
	.set _ZN9rocsparseL29bsrmmnt_small_blockdim_kernelILj64ELj16ELj2EllaaiiEEv20rocsparse_direction_T3_S2_llNS_24const_host_device_scalarIT7_EEPKT2_PKS2_PKT4_PKT5_llS5_PT6_ll16rocsparse_order_21rocsparse_index_base_b.uses_vcc, 1
	.set _ZN9rocsparseL29bsrmmnt_small_blockdim_kernelILj64ELj16ELj2EllaaiiEEv20rocsparse_direction_T3_S2_llNS_24const_host_device_scalarIT7_EEPKT2_PKS2_PKT4_PKT5_llS5_PT6_ll16rocsparse_order_21rocsparse_index_base_b.uses_flat_scratch, 0
	.set _ZN9rocsparseL29bsrmmnt_small_blockdim_kernelILj64ELj16ELj2EllaaiiEEv20rocsparse_direction_T3_S2_llNS_24const_host_device_scalarIT7_EEPKT2_PKS2_PKT4_PKT5_llS5_PT6_ll16rocsparse_order_21rocsparse_index_base_b.has_dyn_sized_stack, 0
	.set _ZN9rocsparseL29bsrmmnt_small_blockdim_kernelILj64ELj16ELj2EllaaiiEEv20rocsparse_direction_T3_S2_llNS_24const_host_device_scalarIT7_EEPKT2_PKS2_PKT4_PKT5_llS5_PT6_ll16rocsparse_order_21rocsparse_index_base_b.has_recursion, 0
	.set _ZN9rocsparseL29bsrmmnt_small_blockdim_kernelILj64ELj16ELj2EllaaiiEEv20rocsparse_direction_T3_S2_llNS_24const_host_device_scalarIT7_EEPKT2_PKS2_PKT4_PKT5_llS5_PT6_ll16rocsparse_order_21rocsparse_index_base_b.has_indirect_call, 0
	.section	.AMDGPU.csdata,"",@progbits
; Kernel info:
; codeLenInByte = 1460
; TotalNumSgprs: 41
; NumVgprs: 34
; ScratchSize: 0
; MemoryBound: 0
; FloatMode: 240
; IeeeMode: 1
; LDSByteSize: 704 bytes/workgroup (compile time only)
; SGPRBlocks: 5
; VGPRBlocks: 8
; NumSGPRsForWavesPerEU: 41
; NumVGPRsForWavesPerEU: 34
; Occupancy: 7
; WaveLimiterHint : 1
; COMPUTE_PGM_RSRC2:SCRATCH_EN: 0
; COMPUTE_PGM_RSRC2:USER_SGPR: 6
; COMPUTE_PGM_RSRC2:TRAP_HANDLER: 0
; COMPUTE_PGM_RSRC2:TGID_X_EN: 1
; COMPUTE_PGM_RSRC2:TGID_Y_EN: 0
; COMPUTE_PGM_RSRC2:TGID_Z_EN: 0
; COMPUTE_PGM_RSRC2:TIDIG_COMP_CNT: 0
	.section	.text._ZN9rocsparseL29bsrmmnt_small_blockdim_kernelILj64ELj32ELj2EllaaiiEEv20rocsparse_direction_T3_S2_llNS_24const_host_device_scalarIT7_EEPKT2_PKS2_PKT4_PKT5_llS5_PT6_ll16rocsparse_order_21rocsparse_index_base_b,"axG",@progbits,_ZN9rocsparseL29bsrmmnt_small_blockdim_kernelILj64ELj32ELj2EllaaiiEEv20rocsparse_direction_T3_S2_llNS_24const_host_device_scalarIT7_EEPKT2_PKS2_PKT4_PKT5_llS5_PT6_ll16rocsparse_order_21rocsparse_index_base_b,comdat
	.globl	_ZN9rocsparseL29bsrmmnt_small_blockdim_kernelILj64ELj32ELj2EllaaiiEEv20rocsparse_direction_T3_S2_llNS_24const_host_device_scalarIT7_EEPKT2_PKS2_PKT4_PKT5_llS5_PT6_ll16rocsparse_order_21rocsparse_index_base_b ; -- Begin function _ZN9rocsparseL29bsrmmnt_small_blockdim_kernelILj64ELj32ELj2EllaaiiEEv20rocsparse_direction_T3_S2_llNS_24const_host_device_scalarIT7_EEPKT2_PKS2_PKT4_PKT5_llS5_PT6_ll16rocsparse_order_21rocsparse_index_base_b
	.p2align	8
	.type	_ZN9rocsparseL29bsrmmnt_small_blockdim_kernelILj64ELj32ELj2EllaaiiEEv20rocsparse_direction_T3_S2_llNS_24const_host_device_scalarIT7_EEPKT2_PKS2_PKT4_PKT5_llS5_PT6_ll16rocsparse_order_21rocsparse_index_base_b,@function
_ZN9rocsparseL29bsrmmnt_small_blockdim_kernelILj64ELj32ELj2EllaaiiEEv20rocsparse_direction_T3_S2_llNS_24const_host_device_scalarIT7_EEPKT2_PKS2_PKT4_PKT5_llS5_PT6_ll16rocsparse_order_21rocsparse_index_base_b: ; @_ZN9rocsparseL29bsrmmnt_small_blockdim_kernelILj64ELj32ELj2EllaaiiEEv20rocsparse_direction_T3_S2_llNS_24const_host_device_scalarIT7_EEPKT2_PKS2_PKT4_PKT5_llS5_PT6_ll16rocsparse_order_21rocsparse_index_base_b
; %bb.0:
	s_load_dwordx4 s[0:3], s[4:5], 0x80
	s_load_dwordx2 s[10:11], s[4:5], 0x28
	s_mov_b64 s[12:13], -1
                                        ; implicit-def: $sgpr28
	s_waitcnt lgkmcnt(0)
	s_bitcmp1_b32 s2, 0
	s_cselect_b64 s[2:3], -1, 0
	s_xor_b64 s[8:9], s[2:3], -1
	s_and_b64 vcc, exec, s[8:9]
	s_cbranch_vccnz .LBB91_4
; %bb.1:
	s_load_dwordx2 s[2:3], s[4:5], 0x60
	s_andn2_b64 vcc, exec, s[12:13]
	s_cbranch_vccz .LBB91_5
.LBB91_2:
	s_and_b64 vcc, exec, s[8:9]
	s_cbranch_vccz .LBB91_6
.LBB91_3:
	s_waitcnt lgkmcnt(0)
	s_load_dword s29, s[2:3], 0x0
	s_cbranch_execz .LBB91_7
	s_branch .LBB91_8
.LBB91_4:
	s_load_dword s28, s[10:11], 0x0
	s_load_dwordx2 s[2:3], s[4:5], 0x60
	s_cbranch_execnz .LBB91_2
.LBB91_5:
	s_waitcnt lgkmcnt(0)
	s_mov_b32 s28, s10
	s_and_b64 vcc, exec, s[8:9]
	s_cbranch_vccnz .LBB91_3
.LBB91_6:
                                        ; implicit-def: $sgpr29
.LBB91_7:
	s_waitcnt lgkmcnt(0)
	s_mov_b32 s29, s2
.LBB91_8:
	s_waitcnt lgkmcnt(0)
	s_cmp_eq_u32 s28, 0
	s_cselect_b64 s[2:3], -1, 0
	s_cmp_eq_u32 s29, 1
	s_cselect_b64 s[8:9], -1, 0
	s_and_b64 s[2:3], s[2:3], s[8:9]
	s_and_b64 vcc, exec, s[2:3]
	s_cbranch_vccnz .LBB91_34
; %bb.9:
	s_load_dword s2, s[4:5], 0x9c
	s_load_dwordx4 s[16:19], s[4:5], 0x8
	v_mov_b32_e32 v2, 0
	s_waitcnt lgkmcnt(0)
	s_and_b32 s2, s2, 0xffff
	s_mul_i32 s6, s6, s2
	v_add_u32_e32 v3, s6, v0
	v_lshrrev_b32_e32 v1, 6, v3
	v_cmp_gt_i64_e32 vcc, s[16:17], v[1:2]
	s_and_saveexec_b64 s[2:3], vcc
	s_cbranch_execz .LBB91_34
; %bb.10:
	v_cmp_lt_i64_e64 s[2:3], s[18:19], 1
	s_and_b64 vcc, exec, s[2:3]
	s_cbranch_vccnz .LBB91_34
; %bb.11:
	s_load_dwordx8 s[8:15], s[4:5], 0x30
	v_lshlrev_b32_e32 v1, 3, v1
	v_lshrrev_b32_e32 v10, 5, v3
	v_and_b32_e32 v14, 31, v0
	v_lshrrev_b32_e32 v0, 5, v0
	s_waitcnt lgkmcnt(0)
	global_load_dwordx4 v[4:7], v1, s[8:9]
	s_load_dword s2, s[4:5], 0x0
	s_load_dwordx4 s[20:23], s[4:5], 0x68
	s_load_dwordx2 s[6:7], s[4:5], 0x50
	v_lshlrev_b32_e32 v15, 8, v0
	v_mul_u32_u24_e32 v0, 0x60, v0
	s_waitcnt lgkmcnt(0)
	s_cmp_eq_u32 s2, 0
	v_mad_u64_u32 v[8:9], s[2:3], v10, s22, 0
	v_lshlrev_b32_e32 v11, 2, v10
	v_or_b32_e32 v16, 0x200, v0
	v_mov_b32_e32 v0, s21
	s_cselect_b64 s[2:3], -1, 0
	v_add_co_u32_e32 v18, vcc, s20, v11
	v_bfe_u32 v1, v3, 5, 1
	v_mov_b32_e32 v2, 0
	s_cmp_lg_u32 s29, 0
	v_addc_co_u32_e32 v19, vcc, 0, v0, vcc
	v_cndmask_b32_e64 v0, 0, 1, s[2:3]
	v_mul_u32_u24_e32 v3, 3, v14
	s_cselect_b64 s[16:17], -1, 0
	s_cmp_lg_u32 s0, 1
	v_lshlrev_b64 v[0:1], v0, v[1:2]
	v_mov_b32_e32 v2, v9
	v_add_u32_e32 v17, v16, v3
	s_cselect_b64 s[24:25], -1, 0
	s_and_b64 s[2:3], s[2:3], exec
	v_mad_u64_u32 v[2:3], s[2:3], v10, s23, v[2:3]
	v_mov_b32_e32 v13, s13
	v_add_co_u32_e32 v20, vcc, s12, v0
	v_mov_b32_e32 v9, v2
	v_addc_co_u32_e32 v21, vcc, v13, v1, vcc
	v_lshlrev_b64 v[0:1], 2, v[8:9]
	v_mov_b32_e32 v12, s21
	v_add_co_u32_e32 v22, vcc, s20, v0
	v_addc_co_u32_e32 v23, vcc, v12, v1, vcc
	s_mov_b32 s30, s1
	s_mov_b64 s[8:9], 0
	s_mov_b32 s31, 0xc0c0400
	s_cselect_b32 s33, 1, 2
	s_mov_b32 s34, 0x4000c0c
	s_mov_b32 s35, 0xc0c0100
	s_waitcnt vmcnt(0)
	v_subrev_co_u32_e32 v0, vcc, s1, v4
	v_subbrev_co_u32_e32 v1, vcc, 0, v5, vcc
	v_subrev_co_u32_e32 v2, vcc, s1, v6
	v_cmp_lt_i64_e64 s[0:1], v[4:5], v[6:7]
	v_subbrev_co_u32_e32 v3, vcc, 0, v7, vcc
	s_branch .LBB91_13
.LBB91_12:                              ;   in Loop: Header=BB91_13 Depth=1
	s_or_b64 exec, exec, s[2:3]
	s_add_u32 s8, s8, 32
	v_mov_b32_e32 v4, s18
	s_addc_u32 s9, s9, 0
	v_mov_b32_e32 v5, s19
	v_cmp_lt_i64_e32 vcc, s[8:9], v[4:5]
	s_cbranch_vccz .LBB91_34
.LBB91_13:                              ; =>This Loop Header: Depth=1
                                        ;     Child Loop BB91_16 Depth 2
                                        ;       Child Loop BB91_20 Depth 3
	v_mov_b32_e32 v5, s9
	v_or_b32_e32 v4, s8, v14
	v_mov_b32_e32 v24, 0
	s_and_saveexec_b64 s[12:13], s[0:1]
	s_cbranch_execz .LBB91_22
; %bb.14:                               ;   in Loop: Header=BB91_13 Depth=1
	v_cmp_gt_i64_e32 vcc, s[18:19], v[4:5]
	v_mov_b32_e32 v7, s15
	v_add_co_u32_e64 v6, s[2:3], s14, v4
	v_mov_b32_e32 v9, v1
	v_addc_co_u32_e64 v7, s[2:3], v7, v5, s[2:3]
	v_mov_b32_e32 v24, 0
	s_mov_b64 s[20:21], 0
	v_mov_b32_e32 v8, v0
	s_branch .LBB91_16
.LBB91_15:                              ;   in Loop: Header=BB91_16 Depth=2
	s_or_b64 exec, exec, s[26:27]
	v_add_co_u32_e64 v8, s[2:3], 32, v8
	v_addc_co_u32_e64 v9, s[2:3], 0, v9, s[2:3]
	v_cmp_ge_i64_e64 s[2:3], v[8:9], v[2:3]
	s_or_b64 s[20:21], s[2:3], s[20:21]
	s_andn2_b64 exec, exec, s[20:21]
	s_cbranch_execz .LBB91_21
.LBB91_16:                              ;   Parent Loop BB91_13 Depth=1
                                        ; =>  This Loop Header: Depth=2
                                        ;       Child Loop BB91_20 Depth 3
	v_add_co_u32_e64 v10, s[2:3], v8, v14
	v_addc_co_u32_e64 v11, s[2:3], 0, v9, s[2:3]
	v_cmp_lt_i64_e64 s[2:3], v[10:11], v[2:3]
	v_mov_b32_e32 v12, 0
	v_mov_b32_e32 v13, 0
	;; [unrolled: 1-line block ×4, first 2 shown]
	s_and_saveexec_b64 s[4:5], s[2:3]
	s_cbranch_execz .LBB91_18
; %bb.17:                               ;   in Loop: Header=BB91_16 Depth=2
	v_lshlrev_b64 v[12:13], 3, v[10:11]
	v_mov_b32_e32 v25, s11
	v_add_co_u32_e64 v12, s[2:3], s10, v12
	v_addc_co_u32_e64 v13, s[2:3], v25, v13, s[2:3]
	v_lshlrev_b64 v[10:11], 2, v[10:11]
	global_load_dwordx2 v[12:13], v[12:13], off
	v_add_co_u32_e64 v10, s[2:3], v20, v10
	v_addc_co_u32_e64 v11, s[2:3], v21, v11, s[2:3]
	v_add_co_u32_e64 v27, s[2:3], s33, v10
	v_addc_co_u32_e64 v28, s[2:3], 0, v11, s[2:3]
	global_load_ubyte v25, v[10:11], off
	global_load_ubyte v26, v[27:28], off
	s_waitcnt vmcnt(2)
	v_subrev_co_u32_e64 v10, s[2:3], s30, v12
	v_subbrev_co_u32_e64 v11, s[2:3], 0, v13, s[2:3]
	v_lshlrev_b64 v[12:13], 1, v[10:11]
.LBB91_18:                              ;   in Loop: Header=BB91_16 Depth=2
	s_or_b64 exec, exec, s[4:5]
	v_lshl_or_b32 v10, v14, 3, v15
	ds_write_b64 v10, v[12:13]
	s_waitcnt vmcnt(1)
	ds_write_b8 v17, v25
	s_waitcnt vmcnt(0)
	ds_write_b8 v17, v26 offset:1
	s_waitcnt lgkmcnt(0)
	; wave barrier
	s_and_saveexec_b64 s[26:27], vcc
	s_cbranch_execz .LBB91_15
; %bb.19:                               ;   in Loop: Header=BB91_16 Depth=2
	s_mov_b32 s36, 0
	v_mov_b32_e32 v10, v15
.LBB91_20:                              ;   Parent Loop BB91_13 Depth=1
                                        ;     Parent Loop BB91_16 Depth=2
                                        ; =>    This Inner Loop Header: Depth=3
	ds_read_b128 v[25:28], v10
	v_mov_b32_e32 v13, s7
	v_add_u32_e32 v10, 16, v10
	s_waitcnt lgkmcnt(0)
	v_mad_u64_u32 v[11:12], s[2:3], v25, s6, v[6:7]
	v_mul_lo_u32 v29, v25, s7
	v_mul_lo_u32 v30, v26, s6
	v_mad_u64_u32 v[25:26], s[2:3], v27, s6, v[6:7]
	v_mul_lo_u32 v27, v27, s7
	v_mul_lo_u32 v28, v28, s6
	v_add3_u32 v12, v30, v12, v29
	v_add_co_u32_e64 v29, s[4:5], s6, v11
	v_add3_u32 v26, v28, v26, v27
	v_add_co_u32_e64 v27, s[2:3], s6, v25
	v_addc_co_u32_e64 v30, s[4:5], v12, v13, s[4:5]
	v_addc_co_u32_e64 v28, s[2:3], v26, v13, s[2:3]
	global_load_sbyte v13, v[11:12], off
	global_load_sbyte v31, v[25:26], off
	;; [unrolled: 1-line block ×4, first 2 shown]
	v_add_u32_e32 v11, s36, v16
	ds_read_u16 v12, v11
	ds_read_i8 v25, v11 offset:3
	ds_read_i8 v11, v11 offset:4
	s_add_i32 s36, s36, 6
	s_cmpk_lg_i32 s36, 0x60
	s_waitcnt lgkmcnt(2)
	v_perm_b32 v12, v12, v12, s35
	s_waitcnt lgkmcnt(0)
	v_perm_b32 v11, v11, v25, s34
	v_or_b32_e32 v11, v11, v12
	s_waitcnt vmcnt(1)
	v_perm_b32 v12, v32, v13, s31
	s_waitcnt vmcnt(0)
	v_perm_b32 v13, v33, v31, s34
	v_or_b32_e32 v12, v13, v12
	v_dot4_i32_i8 v24, v11, v12, v24
	s_cbranch_scc1 .LBB91_20
	s_branch .LBB91_15
.LBB91_21:                              ;   in Loop: Header=BB91_13 Depth=1
	s_or_b64 exec, exec, s[20:21]
.LBB91_22:                              ;   in Loop: Header=BB91_13 Depth=1
	s_or_b64 exec, exec, s[12:13]
	v_cmp_gt_i64_e32 vcc, s[18:19], v[4:5]
	s_and_saveexec_b64 s[2:3], vcc
	s_cbranch_execz .LBB91_12
; %bb.23:                               ;   in Loop: Header=BB91_13 Depth=1
	s_mov_b64 s[4:5], -1
	s_and_b64 vcc, exec, s[16:17]
	s_cbranch_vccz .LBB91_29
; %bb.24:                               ;   in Loop: Header=BB91_13 Depth=1
	s_and_b64 vcc, exec, s[24:25]
	s_cbranch_vccz .LBB91_26
; %bb.25:                               ;   in Loop: Header=BB91_13 Depth=1
	v_lshlrev_b64 v[6:7], 2, v[4:5]
	v_mul_lo_u32 v8, v24, s28
	v_add_co_u32_e32 v6, vcc, v22, v6
	v_addc_co_u32_e32 v7, vcc, v23, v7, vcc
	global_load_dword v9, v[6:7], off
	s_waitcnt vmcnt(0)
	v_mad_u64_u32 v[8:9], s[4:5], v9, s29, v[8:9]
	s_mov_b64 s[4:5], 0
	global_store_dword v[6:7], v8, off
.LBB91_26:                              ;   in Loop: Header=BB91_13 Depth=1
	s_andn2_b64 vcc, exec, s[4:5]
	s_cbranch_vccnz .LBB91_28
; %bb.27:                               ;   in Loop: Header=BB91_13 Depth=1
	v_mul_lo_u32 v8, v5, s22
	v_mul_lo_u32 v9, v4, s23
	v_mad_u64_u32 v[6:7], s[4:5], v4, s22, 0
	v_add3_u32 v7, v7, v9, v8
	v_lshlrev_b64 v[6:7], 2, v[6:7]
	v_mul_lo_u32 v8, v24, s28
	v_add_co_u32_e32 v6, vcc, v18, v6
	v_addc_co_u32_e32 v7, vcc, v19, v7, vcc
	global_load_dword v9, v[6:7], off
	s_waitcnt vmcnt(0)
	v_mad_u64_u32 v[8:9], s[4:5], v9, s29, v[8:9]
	global_store_dword v[6:7], v8, off
.LBB91_28:                              ;   in Loop: Header=BB91_13 Depth=1
	s_mov_b64 s[4:5], 0
.LBB91_29:                              ;   in Loop: Header=BB91_13 Depth=1
	s_andn2_b64 vcc, exec, s[4:5]
	s_cbranch_vccnz .LBB91_12
; %bb.30:                               ;   in Loop: Header=BB91_13 Depth=1
	v_mul_lo_u32 v6, v24, s28
	s_mov_b64 s[4:5], -1
	s_and_b64 vcc, exec, s[24:25]
	s_cbranch_vccz .LBB91_32
; %bb.31:                               ;   in Loop: Header=BB91_13 Depth=1
	v_lshlrev_b64 v[7:8], 2, v[4:5]
	s_mov_b64 s[4:5], 0
	v_add_co_u32_e32 v7, vcc, v22, v7
	v_addc_co_u32_e32 v8, vcc, v23, v8, vcc
	global_store_dword v[7:8], v6, off
.LBB91_32:                              ;   in Loop: Header=BB91_13 Depth=1
	s_andn2_b64 vcc, exec, s[4:5]
	s_cbranch_vccnz .LBB91_12
; %bb.33:                               ;   in Loop: Header=BB91_13 Depth=1
	v_mul_lo_u32 v7, v5, s22
	v_mul_lo_u32 v8, v4, s23
	v_mad_u64_u32 v[4:5], s[4:5], v4, s22, 0
	v_add3_u32 v5, v5, v8, v7
	v_lshlrev_b64 v[4:5], 2, v[4:5]
	v_add_co_u32_e32 v4, vcc, v18, v4
	v_addc_co_u32_e32 v5, vcc, v19, v5, vcc
	global_store_dword v[4:5], v6, off
	s_branch .LBB91_12
.LBB91_34:
	s_endpgm
	.section	.rodata,"a",@progbits
	.p2align	6, 0x0
	.amdhsa_kernel _ZN9rocsparseL29bsrmmnt_small_blockdim_kernelILj64ELj32ELj2EllaaiiEEv20rocsparse_direction_T3_S2_llNS_24const_host_device_scalarIT7_EEPKT2_PKS2_PKT4_PKT5_llS5_PT6_ll16rocsparse_order_21rocsparse_index_base_b
		.amdhsa_group_segment_fixed_size 704
		.amdhsa_private_segment_fixed_size 0
		.amdhsa_kernarg_size 400
		.amdhsa_user_sgpr_count 6
		.amdhsa_user_sgpr_private_segment_buffer 1
		.amdhsa_user_sgpr_dispatch_ptr 0
		.amdhsa_user_sgpr_queue_ptr 0
		.amdhsa_user_sgpr_kernarg_segment_ptr 1
		.amdhsa_user_sgpr_dispatch_id 0
		.amdhsa_user_sgpr_flat_scratch_init 0
		.amdhsa_user_sgpr_private_segment_size 0
		.amdhsa_uses_dynamic_stack 0
		.amdhsa_system_sgpr_private_segment_wavefront_offset 0
		.amdhsa_system_sgpr_workgroup_id_x 1
		.amdhsa_system_sgpr_workgroup_id_y 0
		.amdhsa_system_sgpr_workgroup_id_z 0
		.amdhsa_system_sgpr_workgroup_info 0
		.amdhsa_system_vgpr_workitem_id 0
		.amdhsa_next_free_vgpr 34
		.amdhsa_next_free_sgpr 37
		.amdhsa_reserve_vcc 1
		.amdhsa_reserve_flat_scratch 0
		.amdhsa_float_round_mode_32 0
		.amdhsa_float_round_mode_16_64 0
		.amdhsa_float_denorm_mode_32 3
		.amdhsa_float_denorm_mode_16_64 3
		.amdhsa_dx10_clamp 1
		.amdhsa_ieee_mode 1
		.amdhsa_fp16_overflow 0
		.amdhsa_exception_fp_ieee_invalid_op 0
		.amdhsa_exception_fp_denorm_src 0
		.amdhsa_exception_fp_ieee_div_zero 0
		.amdhsa_exception_fp_ieee_overflow 0
		.amdhsa_exception_fp_ieee_underflow 0
		.amdhsa_exception_fp_ieee_inexact 0
		.amdhsa_exception_int_div_zero 0
	.end_amdhsa_kernel
	.section	.text._ZN9rocsparseL29bsrmmnt_small_blockdim_kernelILj64ELj32ELj2EllaaiiEEv20rocsparse_direction_T3_S2_llNS_24const_host_device_scalarIT7_EEPKT2_PKS2_PKT4_PKT5_llS5_PT6_ll16rocsparse_order_21rocsparse_index_base_b,"axG",@progbits,_ZN9rocsparseL29bsrmmnt_small_blockdim_kernelILj64ELj32ELj2EllaaiiEEv20rocsparse_direction_T3_S2_llNS_24const_host_device_scalarIT7_EEPKT2_PKS2_PKT4_PKT5_llS5_PT6_ll16rocsparse_order_21rocsparse_index_base_b,comdat
.Lfunc_end91:
	.size	_ZN9rocsparseL29bsrmmnt_small_blockdim_kernelILj64ELj32ELj2EllaaiiEEv20rocsparse_direction_T3_S2_llNS_24const_host_device_scalarIT7_EEPKT2_PKS2_PKT4_PKT5_llS5_PT6_ll16rocsparse_order_21rocsparse_index_base_b, .Lfunc_end91-_ZN9rocsparseL29bsrmmnt_small_blockdim_kernelILj64ELj32ELj2EllaaiiEEv20rocsparse_direction_T3_S2_llNS_24const_host_device_scalarIT7_EEPKT2_PKS2_PKT4_PKT5_llS5_PT6_ll16rocsparse_order_21rocsparse_index_base_b
                                        ; -- End function
	.set _ZN9rocsparseL29bsrmmnt_small_blockdim_kernelILj64ELj32ELj2EllaaiiEEv20rocsparse_direction_T3_S2_llNS_24const_host_device_scalarIT7_EEPKT2_PKS2_PKT4_PKT5_llS5_PT6_ll16rocsparse_order_21rocsparse_index_base_b.num_vgpr, 34
	.set _ZN9rocsparseL29bsrmmnt_small_blockdim_kernelILj64ELj32ELj2EllaaiiEEv20rocsparse_direction_T3_S2_llNS_24const_host_device_scalarIT7_EEPKT2_PKS2_PKT4_PKT5_llS5_PT6_ll16rocsparse_order_21rocsparse_index_base_b.num_agpr, 0
	.set _ZN9rocsparseL29bsrmmnt_small_blockdim_kernelILj64ELj32ELj2EllaaiiEEv20rocsparse_direction_T3_S2_llNS_24const_host_device_scalarIT7_EEPKT2_PKS2_PKT4_PKT5_llS5_PT6_ll16rocsparse_order_21rocsparse_index_base_b.numbered_sgpr, 37
	.set _ZN9rocsparseL29bsrmmnt_small_blockdim_kernelILj64ELj32ELj2EllaaiiEEv20rocsparse_direction_T3_S2_llNS_24const_host_device_scalarIT7_EEPKT2_PKS2_PKT4_PKT5_llS5_PT6_ll16rocsparse_order_21rocsparse_index_base_b.num_named_barrier, 0
	.set _ZN9rocsparseL29bsrmmnt_small_blockdim_kernelILj64ELj32ELj2EllaaiiEEv20rocsparse_direction_T3_S2_llNS_24const_host_device_scalarIT7_EEPKT2_PKS2_PKT4_PKT5_llS5_PT6_ll16rocsparse_order_21rocsparse_index_base_b.private_seg_size, 0
	.set _ZN9rocsparseL29bsrmmnt_small_blockdim_kernelILj64ELj32ELj2EllaaiiEEv20rocsparse_direction_T3_S2_llNS_24const_host_device_scalarIT7_EEPKT2_PKS2_PKT4_PKT5_llS5_PT6_ll16rocsparse_order_21rocsparse_index_base_b.uses_vcc, 1
	.set _ZN9rocsparseL29bsrmmnt_small_blockdim_kernelILj64ELj32ELj2EllaaiiEEv20rocsparse_direction_T3_S2_llNS_24const_host_device_scalarIT7_EEPKT2_PKS2_PKT4_PKT5_llS5_PT6_ll16rocsparse_order_21rocsparse_index_base_b.uses_flat_scratch, 0
	.set _ZN9rocsparseL29bsrmmnt_small_blockdim_kernelILj64ELj32ELj2EllaaiiEEv20rocsparse_direction_T3_S2_llNS_24const_host_device_scalarIT7_EEPKT2_PKS2_PKT4_PKT5_llS5_PT6_ll16rocsparse_order_21rocsparse_index_base_b.has_dyn_sized_stack, 0
	.set _ZN9rocsparseL29bsrmmnt_small_blockdim_kernelILj64ELj32ELj2EllaaiiEEv20rocsparse_direction_T3_S2_llNS_24const_host_device_scalarIT7_EEPKT2_PKS2_PKT4_PKT5_llS5_PT6_ll16rocsparse_order_21rocsparse_index_base_b.has_recursion, 0
	.set _ZN9rocsparseL29bsrmmnt_small_blockdim_kernelILj64ELj32ELj2EllaaiiEEv20rocsparse_direction_T3_S2_llNS_24const_host_device_scalarIT7_EEPKT2_PKS2_PKT4_PKT5_llS5_PT6_ll16rocsparse_order_21rocsparse_index_base_b.has_indirect_call, 0
	.section	.AMDGPU.csdata,"",@progbits
; Kernel info:
; codeLenInByte = 1464
; TotalNumSgprs: 41
; NumVgprs: 34
; ScratchSize: 0
; MemoryBound: 0
; FloatMode: 240
; IeeeMode: 1
; LDSByteSize: 704 bytes/workgroup (compile time only)
; SGPRBlocks: 5
; VGPRBlocks: 8
; NumSGPRsForWavesPerEU: 41
; NumVGPRsForWavesPerEU: 34
; Occupancy: 7
; WaveLimiterHint : 1
; COMPUTE_PGM_RSRC2:SCRATCH_EN: 0
; COMPUTE_PGM_RSRC2:USER_SGPR: 6
; COMPUTE_PGM_RSRC2:TRAP_HANDLER: 0
; COMPUTE_PGM_RSRC2:TGID_X_EN: 1
; COMPUTE_PGM_RSRC2:TGID_Y_EN: 0
; COMPUTE_PGM_RSRC2:TGID_Z_EN: 0
; COMPUTE_PGM_RSRC2:TIDIG_COMP_CNT: 0
	.section	.text._ZN9rocsparseL29bsrmmnt_small_blockdim_kernelILj64ELj64ELj2EllaaiiEEv20rocsparse_direction_T3_S2_llNS_24const_host_device_scalarIT7_EEPKT2_PKS2_PKT4_PKT5_llS5_PT6_ll16rocsparse_order_21rocsparse_index_base_b,"axG",@progbits,_ZN9rocsparseL29bsrmmnt_small_blockdim_kernelILj64ELj64ELj2EllaaiiEEv20rocsparse_direction_T3_S2_llNS_24const_host_device_scalarIT7_EEPKT2_PKS2_PKT4_PKT5_llS5_PT6_ll16rocsparse_order_21rocsparse_index_base_b,comdat
	.globl	_ZN9rocsparseL29bsrmmnt_small_blockdim_kernelILj64ELj64ELj2EllaaiiEEv20rocsparse_direction_T3_S2_llNS_24const_host_device_scalarIT7_EEPKT2_PKS2_PKT4_PKT5_llS5_PT6_ll16rocsparse_order_21rocsparse_index_base_b ; -- Begin function _ZN9rocsparseL29bsrmmnt_small_blockdim_kernelILj64ELj64ELj2EllaaiiEEv20rocsparse_direction_T3_S2_llNS_24const_host_device_scalarIT7_EEPKT2_PKS2_PKT4_PKT5_llS5_PT6_ll16rocsparse_order_21rocsparse_index_base_b
	.p2align	8
	.type	_ZN9rocsparseL29bsrmmnt_small_blockdim_kernelILj64ELj64ELj2EllaaiiEEv20rocsparse_direction_T3_S2_llNS_24const_host_device_scalarIT7_EEPKT2_PKS2_PKT4_PKT5_llS5_PT6_ll16rocsparse_order_21rocsparse_index_base_b,@function
_ZN9rocsparseL29bsrmmnt_small_blockdim_kernelILj64ELj64ELj2EllaaiiEEv20rocsparse_direction_T3_S2_llNS_24const_host_device_scalarIT7_EEPKT2_PKS2_PKT4_PKT5_llS5_PT6_ll16rocsparse_order_21rocsparse_index_base_b: ; @_ZN9rocsparseL29bsrmmnt_small_blockdim_kernelILj64ELj64ELj2EllaaiiEEv20rocsparse_direction_T3_S2_llNS_24const_host_device_scalarIT7_EEPKT2_PKS2_PKT4_PKT5_llS5_PT6_ll16rocsparse_order_21rocsparse_index_base_b
; %bb.0:
	s_load_dwordx4 s[0:3], s[4:5], 0x80
	s_load_dwordx2 s[10:11], s[4:5], 0x28
	s_mov_b64 s[12:13], -1
                                        ; implicit-def: $sgpr28
	s_waitcnt lgkmcnt(0)
	s_bitcmp1_b32 s2, 0
	s_cselect_b64 s[2:3], -1, 0
	s_xor_b64 s[8:9], s[2:3], -1
	s_and_b64 vcc, exec, s[8:9]
	s_cbranch_vccnz .LBB92_4
; %bb.1:
	s_load_dwordx2 s[2:3], s[4:5], 0x60
	s_andn2_b64 vcc, exec, s[12:13]
	s_cbranch_vccz .LBB92_5
.LBB92_2:
	s_and_b64 vcc, exec, s[8:9]
	s_cbranch_vccz .LBB92_6
.LBB92_3:
	s_waitcnt lgkmcnt(0)
	s_load_dword s29, s[2:3], 0x0
	s_cbranch_execz .LBB92_7
	s_branch .LBB92_8
.LBB92_4:
	s_load_dword s28, s[10:11], 0x0
	s_load_dwordx2 s[2:3], s[4:5], 0x60
	s_cbranch_execnz .LBB92_2
.LBB92_5:
	s_waitcnt lgkmcnt(0)
	s_mov_b32 s28, s10
	s_and_b64 vcc, exec, s[8:9]
	s_cbranch_vccnz .LBB92_3
.LBB92_6:
                                        ; implicit-def: $sgpr29
.LBB92_7:
	s_waitcnt lgkmcnt(0)
	s_mov_b32 s29, s2
.LBB92_8:
	s_waitcnt lgkmcnt(0)
	s_cmp_eq_u32 s28, 0
	s_cselect_b64 s[2:3], -1, 0
	s_cmp_eq_u32 s29, 1
	s_cselect_b64 s[8:9], -1, 0
	s_and_b64 s[2:3], s[2:3], s[8:9]
	s_and_b64 vcc, exec, s[2:3]
	s_cbranch_vccnz .LBB92_34
; %bb.9:
	s_load_dword s2, s[4:5], 0x9c
	s_load_dwordx4 s[16:19], s[4:5], 0x8
	v_mov_b32_e32 v2, 0
	s_waitcnt lgkmcnt(0)
	s_and_b32 s2, s2, 0xffff
	s_mul_i32 s6, s6, s2
	v_add_u32_e32 v3, s6, v0
	v_lshrrev_b32_e32 v1, 7, v3
	v_cmp_gt_i64_e32 vcc, s[16:17], v[1:2]
	s_and_saveexec_b64 s[2:3], vcc
	s_cbranch_execz .LBB92_34
; %bb.10:
	v_cmp_lt_i64_e64 s[2:3], s[18:19], 1
	s_and_b64 vcc, exec, s[2:3]
	s_cbranch_vccnz .LBB92_34
; %bb.11:
	s_load_dwordx8 s[8:15], s[4:5], 0x30
	v_lshlrev_b32_e32 v1, 3, v1
	v_lshrrev_b32_e32 v9, 6, v3
	v_lshlrev_b32_e32 v10, 2, v9
	v_mov_b32_e32 v2, 0
	s_waitcnt lgkmcnt(0)
	global_load_dwordx4 v[5:8], v1, s[8:9]
	s_load_dword s2, s[4:5], 0x0
	s_load_dwordx4 s[20:23], s[4:5], 0x68
	s_load_dwordx2 s[6:7], s[4:5], 0x50
	v_bfe_u32 v1, v3, 6, 1
	v_mul_u32_u24_e32 v3, 3, v0
	v_add_u32_e32 v17, 0x200, v3
	s_waitcnt lgkmcnt(0)
	s_cmp_eq_u32 s2, 0
	v_mad_u64_u32 v[3:4], s[2:3], v9, s22, 0
	s_cselect_b64 s[2:3], -1, 0
	s_cmp_lg_u32 s29, 0
	v_add_co_u32_e32 v18, vcc, s20, v10
	v_cndmask_b32_e64 v10, 0, 1, s[2:3]
	s_cselect_b64 s[16:17], -1, 0
	s_cmp_lg_u32 s0, 1
	v_lshlrev_b64 v[1:2], v10, v[1:2]
	s_cselect_b64 s[24:25], -1, 0
	s_and_b64 s[2:3], s[2:3], exec
	v_mov_b32_e32 v12, s21
	v_addc_co_u32_e32 v19, vcc, 0, v12, vcc
	v_mov_b32_e32 v13, s13
	v_add_co_u32_e32 v20, vcc, s12, v1
	v_addc_co_u32_e32 v21, vcc, v13, v2, vcc
	v_mov_b32_e32 v11, s21
	s_mov_b32 s30, s1
	v_lshlrev_b32_e32 v15, 3, v0
	v_mov_b32_e32 v16, 0x200
	s_mov_b64 s[8:9], 0
	s_mov_b32 s31, 0xc0c0400
	s_cselect_b32 s33, 1, 2
	s_mov_b32 s34, 0x4000c0c
	s_mov_b32 s35, 0xc0c0100
	s_waitcnt vmcnt(0)
	v_mad_u64_u32 v[9:10], s[2:3], v9, s23, v[4:5]
	v_mov_b32_e32 v4, v9
	v_lshlrev_b64 v[1:2], 2, v[3:4]
	v_add_co_u32_e32 v22, vcc, s20, v1
	v_addc_co_u32_e32 v23, vcc, v11, v2, vcc
	v_subrev_co_u32_e32 v1, vcc, s1, v5
	v_subbrev_co_u32_e32 v2, vcc, 0, v6, vcc
	v_subrev_co_u32_e32 v3, vcc, s1, v7
	v_cmp_lt_i64_e64 s[0:1], v[5:6], v[7:8]
	v_subbrev_co_u32_e32 v4, vcc, 0, v8, vcc
	s_branch .LBB92_13
.LBB92_12:                              ;   in Loop: Header=BB92_13 Depth=1
	s_or_b64 exec, exec, s[2:3]
	s_add_u32 s8, s8, 64
	v_mov_b32_e32 v5, s18
	s_addc_u32 s9, s9, 0
	v_mov_b32_e32 v6, s19
	v_cmp_lt_i64_e32 vcc, s[8:9], v[5:6]
	s_cbranch_vccz .LBB92_34
.LBB92_13:                              ; =>This Loop Header: Depth=1
                                        ;     Child Loop BB92_16 Depth 2
                                        ;       Child Loop BB92_20 Depth 3
	v_mov_b32_e32 v6, s9
	v_or_b32_e32 v5, s8, v0
	v_mov_b32_e32 v24, 0
	s_and_saveexec_b64 s[12:13], s[0:1]
	s_cbranch_execz .LBB92_22
; %bb.14:                               ;   in Loop: Header=BB92_13 Depth=1
	v_cmp_gt_i64_e32 vcc, s[18:19], v[5:6]
	v_mov_b32_e32 v8, s15
	v_add_co_u32_e64 v7, s[2:3], s14, v5
	v_mov_b32_e32 v10, v2
	v_addc_co_u32_e64 v8, s[2:3], v8, v6, s[2:3]
	v_mov_b32_e32 v24, 0
	s_mov_b64 s[20:21], 0
	v_mov_b32_e32 v9, v1
	s_branch .LBB92_16
.LBB92_15:                              ;   in Loop: Header=BB92_16 Depth=2
	s_or_b64 exec, exec, s[26:27]
	v_add_co_u32_e64 v9, s[2:3], 64, v9
	v_addc_co_u32_e64 v10, s[2:3], 0, v10, s[2:3]
	v_cmp_ge_i64_e64 s[2:3], v[9:10], v[3:4]
	s_or_b64 s[20:21], s[2:3], s[20:21]
	s_andn2_b64 exec, exec, s[20:21]
	s_cbranch_execz .LBB92_21
.LBB92_16:                              ;   Parent Loop BB92_13 Depth=1
                                        ; =>  This Loop Header: Depth=2
                                        ;       Child Loop BB92_20 Depth 3
	v_add_co_u32_e64 v11, s[2:3], v9, v0
	v_addc_co_u32_e64 v12, s[2:3], 0, v10, s[2:3]
	v_cmp_lt_i64_e64 s[2:3], v[11:12], v[3:4]
	v_mov_b32_e32 v13, 0
	v_mov_b32_e32 v14, 0
	;; [unrolled: 1-line block ×4, first 2 shown]
	s_and_saveexec_b64 s[4:5], s[2:3]
	s_cbranch_execz .LBB92_18
; %bb.17:                               ;   in Loop: Header=BB92_16 Depth=2
	v_lshlrev_b64 v[13:14], 3, v[11:12]
	v_mov_b32_e32 v25, s11
	v_add_co_u32_e64 v13, s[2:3], s10, v13
	v_addc_co_u32_e64 v14, s[2:3], v25, v14, s[2:3]
	v_lshlrev_b64 v[11:12], 2, v[11:12]
	global_load_dwordx2 v[13:14], v[13:14], off
	v_add_co_u32_e64 v11, s[2:3], v20, v11
	v_addc_co_u32_e64 v12, s[2:3], v21, v12, s[2:3]
	v_add_co_u32_e64 v27, s[2:3], s33, v11
	v_addc_co_u32_e64 v28, s[2:3], 0, v12, s[2:3]
	global_load_ubyte v25, v[11:12], off
	global_load_ubyte v26, v[27:28], off
	s_waitcnt vmcnt(2)
	v_subrev_co_u32_e64 v11, s[2:3], s30, v13
	v_subbrev_co_u32_e64 v12, s[2:3], 0, v14, s[2:3]
	v_lshlrev_b64 v[13:14], 1, v[11:12]
.LBB92_18:                              ;   in Loop: Header=BB92_16 Depth=2
	s_or_b64 exec, exec, s[4:5]
	ds_write_b64 v15, v[13:14]
	s_waitcnt vmcnt(1)
	ds_write_b8 v17, v25
	s_waitcnt vmcnt(0)
	ds_write_b8 v17, v26 offset:1
	s_waitcnt lgkmcnt(0)
	; wave barrier
	s_and_saveexec_b64 s[26:27], vcc
	s_cbranch_execz .LBB92_15
; %bb.19:                               ;   in Loop: Header=BB92_16 Depth=2
	s_mov_b32 s36, 0
	v_mov_b32_e32 v11, 0
.LBB92_20:                              ;   Parent Loop BB92_13 Depth=1
                                        ;     Parent Loop BB92_16 Depth=2
                                        ; =>    This Inner Loop Header: Depth=3
	ds_read_b128 v[25:28], v11
	v_mov_b32_e32 v14, s7
	v_add_u32_e32 v11, 16, v11
	s_waitcnt lgkmcnt(0)
	v_mad_u64_u32 v[12:13], s[2:3], v25, s6, v[7:8]
	v_mul_lo_u32 v29, v25, s7
	v_mul_lo_u32 v30, v26, s6
	v_mad_u64_u32 v[25:26], s[2:3], v27, s6, v[7:8]
	v_mul_lo_u32 v27, v27, s7
	v_mul_lo_u32 v28, v28, s6
	v_add3_u32 v13, v30, v13, v29
	v_add_co_u32_e64 v29, s[4:5], s6, v12
	v_add3_u32 v26, v28, v26, v27
	v_add_co_u32_e64 v27, s[2:3], s6, v25
	v_addc_co_u32_e64 v30, s[4:5], v13, v14, s[4:5]
	v_addc_co_u32_e64 v28, s[2:3], v26, v14, s[2:3]
	global_load_sbyte v14, v[12:13], off
	global_load_sbyte v31, v[25:26], off
	;; [unrolled: 1-line block ×4, first 2 shown]
	v_add_u32_e32 v12, s36, v16
	ds_read_u16 v13, v12
	ds_read_i8 v25, v12 offset:3
	ds_read_i8 v12, v12 offset:4
	s_add_i32 s36, s36, 6
	s_cmpk_lg_i32 s36, 0xc0
	s_waitcnt lgkmcnt(2)
	v_perm_b32 v13, v13, v13, s35
	s_waitcnt lgkmcnt(0)
	v_perm_b32 v12, v12, v25, s34
	v_or_b32_e32 v12, v12, v13
	s_waitcnt vmcnt(1)
	v_perm_b32 v13, v32, v14, s31
	s_waitcnt vmcnt(0)
	v_perm_b32 v14, v33, v31, s34
	v_or_b32_e32 v13, v14, v13
	v_dot4_i32_i8 v24, v12, v13, v24
	s_cbranch_scc1 .LBB92_20
	s_branch .LBB92_15
.LBB92_21:                              ;   in Loop: Header=BB92_13 Depth=1
	s_or_b64 exec, exec, s[20:21]
.LBB92_22:                              ;   in Loop: Header=BB92_13 Depth=1
	s_or_b64 exec, exec, s[12:13]
	v_cmp_gt_i64_e32 vcc, s[18:19], v[5:6]
	s_and_saveexec_b64 s[2:3], vcc
	s_cbranch_execz .LBB92_12
; %bb.23:                               ;   in Loop: Header=BB92_13 Depth=1
	s_mov_b64 s[4:5], -1
	s_and_b64 vcc, exec, s[16:17]
	s_cbranch_vccz .LBB92_29
; %bb.24:                               ;   in Loop: Header=BB92_13 Depth=1
	s_and_b64 vcc, exec, s[24:25]
	s_cbranch_vccz .LBB92_26
; %bb.25:                               ;   in Loop: Header=BB92_13 Depth=1
	v_lshlrev_b64 v[7:8], 2, v[5:6]
	v_mul_lo_u32 v9, v24, s28
	v_add_co_u32_e32 v7, vcc, v22, v7
	v_addc_co_u32_e32 v8, vcc, v23, v8, vcc
	global_load_dword v10, v[7:8], off
	s_waitcnt vmcnt(0)
	v_mad_u64_u32 v[9:10], s[4:5], v10, s29, v[9:10]
	s_mov_b64 s[4:5], 0
	global_store_dword v[7:8], v9, off
.LBB92_26:                              ;   in Loop: Header=BB92_13 Depth=1
	s_andn2_b64 vcc, exec, s[4:5]
	s_cbranch_vccnz .LBB92_28
; %bb.27:                               ;   in Loop: Header=BB92_13 Depth=1
	v_mul_lo_u32 v9, v6, s22
	v_mul_lo_u32 v10, v5, s23
	v_mad_u64_u32 v[7:8], s[4:5], v5, s22, 0
	v_add3_u32 v8, v8, v10, v9
	v_lshlrev_b64 v[7:8], 2, v[7:8]
	v_mul_lo_u32 v9, v24, s28
	v_add_co_u32_e32 v7, vcc, v18, v7
	v_addc_co_u32_e32 v8, vcc, v19, v8, vcc
	global_load_dword v10, v[7:8], off
	s_waitcnt vmcnt(0)
	v_mad_u64_u32 v[9:10], s[4:5], v10, s29, v[9:10]
	global_store_dword v[7:8], v9, off
.LBB92_28:                              ;   in Loop: Header=BB92_13 Depth=1
	s_mov_b64 s[4:5], 0
.LBB92_29:                              ;   in Loop: Header=BB92_13 Depth=1
	s_andn2_b64 vcc, exec, s[4:5]
	s_cbranch_vccnz .LBB92_12
; %bb.30:                               ;   in Loop: Header=BB92_13 Depth=1
	v_mul_lo_u32 v7, v24, s28
	s_mov_b64 s[4:5], -1
	s_and_b64 vcc, exec, s[24:25]
	s_cbranch_vccz .LBB92_32
; %bb.31:                               ;   in Loop: Header=BB92_13 Depth=1
	v_lshlrev_b64 v[8:9], 2, v[5:6]
	s_mov_b64 s[4:5], 0
	v_add_co_u32_e32 v8, vcc, v22, v8
	v_addc_co_u32_e32 v9, vcc, v23, v9, vcc
	global_store_dword v[8:9], v7, off
.LBB92_32:                              ;   in Loop: Header=BB92_13 Depth=1
	s_andn2_b64 vcc, exec, s[4:5]
	s_cbranch_vccnz .LBB92_12
; %bb.33:                               ;   in Loop: Header=BB92_13 Depth=1
	v_mul_lo_u32 v8, v6, s22
	v_mul_lo_u32 v9, v5, s23
	v_mad_u64_u32 v[5:6], s[4:5], v5, s22, 0
	v_add3_u32 v6, v6, v9, v8
	v_lshlrev_b64 v[5:6], 2, v[5:6]
	v_add_co_u32_e32 v5, vcc, v18, v5
	v_addc_co_u32_e32 v6, vcc, v19, v6, vcc
	global_store_dword v[5:6], v7, off
	s_branch .LBB92_12
.LBB92_34:
	s_endpgm
	.section	.rodata,"a",@progbits
	.p2align	6, 0x0
	.amdhsa_kernel _ZN9rocsparseL29bsrmmnt_small_blockdim_kernelILj64ELj64ELj2EllaaiiEEv20rocsparse_direction_T3_S2_llNS_24const_host_device_scalarIT7_EEPKT2_PKS2_PKT4_PKT5_llS5_PT6_ll16rocsparse_order_21rocsparse_index_base_b
		.amdhsa_group_segment_fixed_size 704
		.amdhsa_private_segment_fixed_size 0
		.amdhsa_kernarg_size 400
		.amdhsa_user_sgpr_count 6
		.amdhsa_user_sgpr_private_segment_buffer 1
		.amdhsa_user_sgpr_dispatch_ptr 0
		.amdhsa_user_sgpr_queue_ptr 0
		.amdhsa_user_sgpr_kernarg_segment_ptr 1
		.amdhsa_user_sgpr_dispatch_id 0
		.amdhsa_user_sgpr_flat_scratch_init 0
		.amdhsa_user_sgpr_private_segment_size 0
		.amdhsa_uses_dynamic_stack 0
		.amdhsa_system_sgpr_private_segment_wavefront_offset 0
		.amdhsa_system_sgpr_workgroup_id_x 1
		.amdhsa_system_sgpr_workgroup_id_y 0
		.amdhsa_system_sgpr_workgroup_id_z 0
		.amdhsa_system_sgpr_workgroup_info 0
		.amdhsa_system_vgpr_workitem_id 0
		.amdhsa_next_free_vgpr 34
		.amdhsa_next_free_sgpr 37
		.amdhsa_reserve_vcc 1
		.amdhsa_reserve_flat_scratch 0
		.amdhsa_float_round_mode_32 0
		.amdhsa_float_round_mode_16_64 0
		.amdhsa_float_denorm_mode_32 3
		.amdhsa_float_denorm_mode_16_64 3
		.amdhsa_dx10_clamp 1
		.amdhsa_ieee_mode 1
		.amdhsa_fp16_overflow 0
		.amdhsa_exception_fp_ieee_invalid_op 0
		.amdhsa_exception_fp_denorm_src 0
		.amdhsa_exception_fp_ieee_div_zero 0
		.amdhsa_exception_fp_ieee_overflow 0
		.amdhsa_exception_fp_ieee_underflow 0
		.amdhsa_exception_fp_ieee_inexact 0
		.amdhsa_exception_int_div_zero 0
	.end_amdhsa_kernel
	.section	.text._ZN9rocsparseL29bsrmmnt_small_blockdim_kernelILj64ELj64ELj2EllaaiiEEv20rocsparse_direction_T3_S2_llNS_24const_host_device_scalarIT7_EEPKT2_PKS2_PKT4_PKT5_llS5_PT6_ll16rocsparse_order_21rocsparse_index_base_b,"axG",@progbits,_ZN9rocsparseL29bsrmmnt_small_blockdim_kernelILj64ELj64ELj2EllaaiiEEv20rocsparse_direction_T3_S2_llNS_24const_host_device_scalarIT7_EEPKT2_PKS2_PKT4_PKT5_llS5_PT6_ll16rocsparse_order_21rocsparse_index_base_b,comdat
.Lfunc_end92:
	.size	_ZN9rocsparseL29bsrmmnt_small_blockdim_kernelILj64ELj64ELj2EllaaiiEEv20rocsparse_direction_T3_S2_llNS_24const_host_device_scalarIT7_EEPKT2_PKS2_PKT4_PKT5_llS5_PT6_ll16rocsparse_order_21rocsparse_index_base_b, .Lfunc_end92-_ZN9rocsparseL29bsrmmnt_small_blockdim_kernelILj64ELj64ELj2EllaaiiEEv20rocsparse_direction_T3_S2_llNS_24const_host_device_scalarIT7_EEPKT2_PKS2_PKT4_PKT5_llS5_PT6_ll16rocsparse_order_21rocsparse_index_base_b
                                        ; -- End function
	.set _ZN9rocsparseL29bsrmmnt_small_blockdim_kernelILj64ELj64ELj2EllaaiiEEv20rocsparse_direction_T3_S2_llNS_24const_host_device_scalarIT7_EEPKT2_PKS2_PKT4_PKT5_llS5_PT6_ll16rocsparse_order_21rocsparse_index_base_b.num_vgpr, 34
	.set _ZN9rocsparseL29bsrmmnt_small_blockdim_kernelILj64ELj64ELj2EllaaiiEEv20rocsparse_direction_T3_S2_llNS_24const_host_device_scalarIT7_EEPKT2_PKS2_PKT4_PKT5_llS5_PT6_ll16rocsparse_order_21rocsparse_index_base_b.num_agpr, 0
	.set _ZN9rocsparseL29bsrmmnt_small_blockdim_kernelILj64ELj64ELj2EllaaiiEEv20rocsparse_direction_T3_S2_llNS_24const_host_device_scalarIT7_EEPKT2_PKS2_PKT4_PKT5_llS5_PT6_ll16rocsparse_order_21rocsparse_index_base_b.numbered_sgpr, 37
	.set _ZN9rocsparseL29bsrmmnt_small_blockdim_kernelILj64ELj64ELj2EllaaiiEEv20rocsparse_direction_T3_S2_llNS_24const_host_device_scalarIT7_EEPKT2_PKS2_PKT4_PKT5_llS5_PT6_ll16rocsparse_order_21rocsparse_index_base_b.num_named_barrier, 0
	.set _ZN9rocsparseL29bsrmmnt_small_blockdim_kernelILj64ELj64ELj2EllaaiiEEv20rocsparse_direction_T3_S2_llNS_24const_host_device_scalarIT7_EEPKT2_PKS2_PKT4_PKT5_llS5_PT6_ll16rocsparse_order_21rocsparse_index_base_b.private_seg_size, 0
	.set _ZN9rocsparseL29bsrmmnt_small_blockdim_kernelILj64ELj64ELj2EllaaiiEEv20rocsparse_direction_T3_S2_llNS_24const_host_device_scalarIT7_EEPKT2_PKS2_PKT4_PKT5_llS5_PT6_ll16rocsparse_order_21rocsparse_index_base_b.uses_vcc, 1
	.set _ZN9rocsparseL29bsrmmnt_small_blockdim_kernelILj64ELj64ELj2EllaaiiEEv20rocsparse_direction_T3_S2_llNS_24const_host_device_scalarIT7_EEPKT2_PKS2_PKT4_PKT5_llS5_PT6_ll16rocsparse_order_21rocsparse_index_base_b.uses_flat_scratch, 0
	.set _ZN9rocsparseL29bsrmmnt_small_blockdim_kernelILj64ELj64ELj2EllaaiiEEv20rocsparse_direction_T3_S2_llNS_24const_host_device_scalarIT7_EEPKT2_PKS2_PKT4_PKT5_llS5_PT6_ll16rocsparse_order_21rocsparse_index_base_b.has_dyn_sized_stack, 0
	.set _ZN9rocsparseL29bsrmmnt_small_blockdim_kernelILj64ELj64ELj2EllaaiiEEv20rocsparse_direction_T3_S2_llNS_24const_host_device_scalarIT7_EEPKT2_PKS2_PKT4_PKT5_llS5_PT6_ll16rocsparse_order_21rocsparse_index_base_b.has_recursion, 0
	.set _ZN9rocsparseL29bsrmmnt_small_blockdim_kernelILj64ELj64ELj2EllaaiiEEv20rocsparse_direction_T3_S2_llNS_24const_host_device_scalarIT7_EEPKT2_PKS2_PKT4_PKT5_llS5_PT6_ll16rocsparse_order_21rocsparse_index_base_b.has_indirect_call, 0
	.section	.AMDGPU.csdata,"",@progbits
; Kernel info:
; codeLenInByte = 1440
; TotalNumSgprs: 41
; NumVgprs: 34
; ScratchSize: 0
; MemoryBound: 0
; FloatMode: 240
; IeeeMode: 1
; LDSByteSize: 704 bytes/workgroup (compile time only)
; SGPRBlocks: 5
; VGPRBlocks: 8
; NumSGPRsForWavesPerEU: 41
; NumVGPRsForWavesPerEU: 34
; Occupancy: 7
; WaveLimiterHint : 1
; COMPUTE_PGM_RSRC2:SCRATCH_EN: 0
; COMPUTE_PGM_RSRC2:USER_SGPR: 6
; COMPUTE_PGM_RSRC2:TRAP_HANDLER: 0
; COMPUTE_PGM_RSRC2:TGID_X_EN: 1
; COMPUTE_PGM_RSRC2:TGID_Y_EN: 0
; COMPUTE_PGM_RSRC2:TGID_Z_EN: 0
; COMPUTE_PGM_RSRC2:TIDIG_COMP_CNT: 0
	.section	.text._ZN9rocsparseL29bsrmmnt_small_blockdim_kernelILj64ELj8ELj2EiiaaffEEv20rocsparse_direction_T3_S2_llNS_24const_host_device_scalarIT7_EEPKT2_PKS2_PKT4_PKT5_llS5_PT6_ll16rocsparse_order_21rocsparse_index_base_b,"axG",@progbits,_ZN9rocsparseL29bsrmmnt_small_blockdim_kernelILj64ELj8ELj2EiiaaffEEv20rocsparse_direction_T3_S2_llNS_24const_host_device_scalarIT7_EEPKT2_PKS2_PKT4_PKT5_llS5_PT6_ll16rocsparse_order_21rocsparse_index_base_b,comdat
	.globl	_ZN9rocsparseL29bsrmmnt_small_blockdim_kernelILj64ELj8ELj2EiiaaffEEv20rocsparse_direction_T3_S2_llNS_24const_host_device_scalarIT7_EEPKT2_PKS2_PKT4_PKT5_llS5_PT6_ll16rocsparse_order_21rocsparse_index_base_b ; -- Begin function _ZN9rocsparseL29bsrmmnt_small_blockdim_kernelILj64ELj8ELj2EiiaaffEEv20rocsparse_direction_T3_S2_llNS_24const_host_device_scalarIT7_EEPKT2_PKS2_PKT4_PKT5_llS5_PT6_ll16rocsparse_order_21rocsparse_index_base_b
	.p2align	8
	.type	_ZN9rocsparseL29bsrmmnt_small_blockdim_kernelILj64ELj8ELj2EiiaaffEEv20rocsparse_direction_T3_S2_llNS_24const_host_device_scalarIT7_EEPKT2_PKS2_PKT4_PKT5_llS5_PT6_ll16rocsparse_order_21rocsparse_index_base_b,@function
_ZN9rocsparseL29bsrmmnt_small_blockdim_kernelILj64ELj8ELj2EiiaaffEEv20rocsparse_direction_T3_S2_llNS_24const_host_device_scalarIT7_EEPKT2_PKS2_PKT4_PKT5_llS5_PT6_ll16rocsparse_order_21rocsparse_index_base_b: ; @_ZN9rocsparseL29bsrmmnt_small_blockdim_kernelILj64ELj8ELj2EiiaaffEEv20rocsparse_direction_T3_S2_llNS_24const_host_device_scalarIT7_EEPKT2_PKS2_PKT4_PKT5_llS5_PT6_ll16rocsparse_order_21rocsparse_index_base_b
; %bb.0:
	s_load_dwordx4 s[16:19], s[4:5], 0x78
	s_load_dwordx2 s[28:29], s[4:5], 0x20
	s_load_dwordx2 s[30:31], s[4:5], 0x58
	s_waitcnt lgkmcnt(0)
	s_bitcmp1_b32 s18, 0
	s_cselect_b64 s[2:3], -1, 0
	s_xor_b64 s[0:1], s[2:3], -1
	s_and_b64 vcc, exec, s[2:3]
	s_cbranch_vccnz .LBB93_2
; %bb.1:
	s_load_dword s28, s[28:29], 0x0
.LBB93_2:
	s_andn2_b64 vcc, exec, s[0:1]
	s_cbranch_vccnz .LBB93_4
; %bb.3:
	s_load_dword s30, s[30:31], 0x0
.LBB93_4:
	s_waitcnt lgkmcnt(0)
	v_cmp_eq_f32_e64 s[0:1], s28, 0
	v_cmp_eq_f32_e64 s[2:3], s30, 1.0
	s_and_b64 s[0:1], s[0:1], s[2:3]
	s_and_b64 vcc, exec, s[0:1]
	s_cbranch_vccnz .LBB93_30
; %bb.5:
	s_load_dword s0, s[4:5], 0x94
	s_load_dwordx4 s[20:23], s[4:5], 0x0
	s_waitcnt lgkmcnt(0)
	s_and_b32 s0, s0, 0xffff
	s_mul_i32 s6, s6, s0
	v_add_u32_e32 v1, s6, v0
	v_lshrrev_b32_e32 v2, 4, v1
	v_cmp_gt_i32_e32 vcc, s21, v2
	s_and_saveexec_b64 s[0:1], vcc
	s_cbranch_execz .LBB93_30
; %bb.6:
	s_cmp_lt_i32 s22, 1
	s_cbranch_scc1 .LBB93_30
; %bb.7:
	s_load_dwordx8 s[8:15], s[4:5], 0x28
	v_lshlrev_b32_e32 v2, 2, v2
	v_lshrrev_b32_e32 v4, 3, v1
	v_bfe_u32 v1, v1, 3, 1
	v_and_b32_e32 v6, 7, v0
	s_waitcnt lgkmcnt(0)
	global_load_dwordx2 v[2:3], v2, s[8:9]
	s_load_dwordx4 s[24:27], s[4:5], 0x60
	s_load_dwordx2 s[6:7], s[4:5], 0x48
	v_lshrrev_b32_e32 v0, 3, v0
	s_cmp_eq_u32 s20, 0
	v_lshlrev_b32_e32 v7, 5, v0
	v_lshlrev_b32_e32 v9, 1, v1
	s_cselect_b64 vcc, -1, 0
	v_mul_u32_u24_e32 v0, 24, v0
	v_or_b32_e32 v5, 2, v1
	v_or_b32_e32 v8, 0x100, v0
	;; [unrolled: 1-line block ×3, first 2 shown]
	v_cndmask_b32_e32 v9, v1, v9, vcc
	s_waitcnt lgkmcnt(0)
	v_mad_u64_u32 v[0:1], s[0:1], s26, v4, 0
	v_lshlrev_b32_e32 v11, 2, v4
	v_cndmask_b32_e32 v10, v5, v10, vcc
	v_mov_b32_e32 v12, s25
	v_add_co_u32_e32 v11, vcc, s24, v11
	v_addc_co_u32_e32 v12, vcc, 0, v12, vcc
	v_mul_u32_u24_e32 v17, 3, v6
	s_cmp_lg_u32 s16, 1
	v_mov_b32_e32 v14, s25
	s_mov_b32 s23, 0
	v_cmp_neq_f32_e64 s[4:5], s30, 0
	s_cselect_b64 s[8:9], -1, 0
	v_add_u32_e32 v17, v8, v17
	s_waitcnt vmcnt(0)
	v_mad_u64_u32 v[4:5], s[0:1], s27, v4, v[1:2]
	v_subrev_u32_e32 v15, s17, v2
	v_subrev_u32_e32 v16, s17, v3
	v_mov_b32_e32 v1, v4
	v_lshlrev_b64 v[0:1], 2, v[0:1]
	v_cmp_lt_i32_e64 s[0:1], v2, v3
	v_add_co_u32_e32 v13, vcc, s24, v0
	v_addc_co_u32_e32 v14, vcc, v14, v1, vcc
	s_branch .LBB93_9
.LBB93_8:                               ;   in Loop: Header=BB93_9 Depth=1
	s_or_b64 exec, exec, s[2:3]
	s_add_i32 s23, s23, 8
	s_cmp_lt_i32 s23, s22
	s_cbranch_scc0 .LBB93_30
.LBB93_9:                               ; =>This Loop Header: Depth=1
                                        ;     Child Loop BB93_12 Depth 2
                                        ;       Child Loop BB93_16 Depth 3
	v_or_b32_e32 v0, s23, v6
	v_ashrrev_i32_e32 v1, 31, v0
	v_mov_b32_e32 v18, 0
	s_and_saveexec_b64 s[18:19], s[0:1]
	s_cbranch_execz .LBB93_18
; %bb.10:                               ;   in Loop: Header=BB93_9 Depth=1
	v_mov_b32_e32 v3, s15
	v_add_co_u32_e64 v2, s[2:3], s14, v0
	v_cmp_gt_i32_e32 vcc, s22, v0
	v_addc_co_u32_e64 v3, s[2:3], v3, v1, s[2:3]
	v_mov_b32_e32 v18, 0
	s_mov_b64 s[20:21], 0
	v_mov_b32_e32 v19, v15
	s_branch .LBB93_12
.LBB93_11:                              ;   in Loop: Header=BB93_12 Depth=2
	s_or_b64 exec, exec, s[2:3]
	v_add_u32_e32 v19, 8, v19
	v_cmp_ge_i32_e64 s[2:3], v19, v16
	s_or_b64 s[20:21], s[2:3], s[20:21]
	s_andn2_b64 exec, exec, s[20:21]
	s_cbranch_execz .LBB93_17
.LBB93_12:                              ;   Parent Loop BB93_9 Depth=1
                                        ; =>  This Loop Header: Depth=2
                                        ;       Child Loop BB93_16 Depth 3
	v_add_u32_e32 v4, v19, v6
	v_cmp_lt_i32_e64 s[2:3], v4, v16
	v_mov_b32_e32 v21, 0
	v_mov_b32_e32 v5, 0
	;; [unrolled: 1-line block ×3, first 2 shown]
	s_and_saveexec_b64 s[24:25], s[2:3]
	s_cbranch_execz .LBB93_14
; %bb.13:                               ;   in Loop: Header=BB93_12 Depth=2
	v_ashrrev_i32_e32 v5, 31, v4
	v_lshlrev_b64 v[20:21], 2, v[4:5]
	v_mov_b32_e32 v5, s11
	v_add_co_u32_e64 v20, s[2:3], s10, v20
	v_addc_co_u32_e64 v21, s[2:3], v5, v21, s[2:3]
	global_load_dword v21, v[20:21], off
	v_lshlrev_b32_e32 v4, 2, v4
	v_or_b32_e32 v22, v4, v9
	v_or_b32_e32 v4, v4, v10
	global_load_ubyte v5, v22, s[12:13]
	global_load_ubyte v20, v4, s[12:13]
	s_waitcnt vmcnt(2)
	v_subrev_u32_e32 v4, s17, v21
	v_lshlrev_b32_e32 v21, 1, v4
.LBB93_14:                              ;   in Loop: Header=BB93_12 Depth=2
	s_or_b64 exec, exec, s[24:25]
	v_lshl_or_b32 v4, v6, 2, v7
	ds_write_b32 v4, v21
	s_waitcnt vmcnt(1)
	ds_write_b8 v17, v5
	s_waitcnt vmcnt(0)
	ds_write_b8 v17, v20 offset:1
	s_waitcnt lgkmcnt(0)
	; wave barrier
	s_and_saveexec_b64 s[2:3], vcc
	s_cbranch_execz .LBB93_11
; %bb.15:                               ;   in Loop: Header=BB93_12 Depth=2
	s_mov_b32 s16, 0
	v_mov_b32_e32 v4, v8
.LBB93_16:                              ;   Parent Loop BB93_9 Depth=1
                                        ;     Parent Loop BB93_12 Depth=2
                                        ; =>    This Inner Loop Header: Depth=3
	v_add_u32_e32 v5, s16, v7
	ds_read_b64 v[20:21], v5
	s_add_i32 s16, s16, 8
	s_cmp_lg_u32 s16, 32
	s_waitcnt lgkmcnt(0)
	v_ashrrev_i32_e32 v5, 31, v20
	v_mul_lo_u32 v5, s6, v5
	v_mul_lo_u32 v24, s7, v20
	v_mad_u64_u32 v[22:23], s[24:25], s6, v20, v[2:3]
	v_add3_u32 v23, v24, v23, v5
	global_load_sbyte v5, v[22:23], off
	ds_read_u16 v22, v4
	ds_read_i8 v24, v4 offset:3
	ds_read_i8 v25, v4 offset:4
	v_add_u32_e32 v4, 6, v4
	s_waitcnt lgkmcnt(2)
	v_bfe_i32 v23, v22, 0, 8
	v_ashrrev_i16_e32 v26, 8, v22
	v_cvt_f32_i32_sdwa v22, sext(v23) dst_sel:DWORD dst_unused:UNUSED_PAD src0_sel:WORD_0
	s_waitcnt vmcnt(0)
	v_cvt_f32_i32_e32 v5, v5
	v_fmac_f32_e32 v18, v22, v5
	v_add_u32_e32 v5, 1, v20
	v_ashrrev_i32_e32 v20, 31, v5
	v_mul_lo_u32 v20, s6, v20
	v_mul_lo_u32 v27, s7, v5
	v_mad_u64_u32 v[22:23], s[24:25], s6, v5, v[2:3]
	v_add3_u32 v23, v27, v23, v20
	global_load_sbyte v5, v[22:23], off
	v_cvt_f32_i32_sdwa v20, sext(v26) dst_sel:DWORD dst_unused:UNUSED_PAD src0_sel:WORD_0
	v_mad_u64_u32 v[22:23], s[24:25], s6, v21, v[2:3]
	s_waitcnt vmcnt(0)
	v_cvt_f32_i32_e32 v5, v5
	v_fmac_f32_e32 v18, v20, v5
	v_ashrrev_i32_e32 v5, 31, v21
	v_mul_lo_u32 v5, s6, v5
	v_mul_lo_u32 v20, s7, v21
	v_add3_u32 v23, v20, v23, v5
	global_load_sbyte v5, v[22:23], off
	s_waitcnt lgkmcnt(1)
	v_cvt_f32_i32_e32 v20, v24
	s_waitcnt vmcnt(0)
	v_cvt_f32_i32_e32 v5, v5
	v_fmac_f32_e32 v18, v20, v5
	v_add_u32_e32 v5, 1, v21
	v_ashrrev_i32_e32 v20, 31, v5
	v_mul_lo_u32 v22, s6, v20
	v_mul_lo_u32 v23, s7, v5
	v_mad_u64_u32 v[20:21], s[24:25], s6, v5, v[2:3]
	v_add3_u32 v21, v23, v21, v22
	global_load_sbyte v5, v[20:21], off
	s_waitcnt lgkmcnt(0)
	v_cvt_f32_i32_e32 v20, v25
	s_waitcnt vmcnt(0)
	v_cvt_f32_i32_e32 v5, v5
	v_fmac_f32_e32 v18, v20, v5
	s_cbranch_scc1 .LBB93_16
	s_branch .LBB93_11
.LBB93_17:                              ;   in Loop: Header=BB93_9 Depth=1
	s_or_b64 exec, exec, s[20:21]
.LBB93_18:                              ;   in Loop: Header=BB93_9 Depth=1
	s_or_b64 exec, exec, s[18:19]
	v_cmp_gt_i32_e32 vcc, s22, v0
	s_and_saveexec_b64 s[2:3], vcc
	s_cbranch_execz .LBB93_8
; %bb.19:                               ;   in Loop: Header=BB93_9 Depth=1
	s_mov_b64 s[18:19], -1
	s_and_b64 vcc, exec, s[4:5]
	s_cbranch_vccz .LBB93_25
; %bb.20:                               ;   in Loop: Header=BB93_9 Depth=1
	s_and_b64 vcc, exec, s[8:9]
	s_cbranch_vccz .LBB93_22
; %bb.21:                               ;   in Loop: Header=BB93_9 Depth=1
	v_lshlrev_b64 v[2:3], 2, v[0:1]
	v_mul_f32_e32 v5, s28, v18
	v_add_co_u32_e32 v2, vcc, v13, v2
	v_addc_co_u32_e32 v3, vcc, v14, v3, vcc
	global_load_dword v4, v[2:3], off
	s_mov_b64 s[18:19], 0
	s_waitcnt vmcnt(0)
	v_fmac_f32_e32 v5, s30, v4
	global_store_dword v[2:3], v5, off
.LBB93_22:                              ;   in Loop: Header=BB93_9 Depth=1
	s_andn2_b64 vcc, exec, s[18:19]
	s_cbranch_vccnz .LBB93_24
; %bb.23:                               ;   in Loop: Header=BB93_9 Depth=1
	v_mul_lo_u32 v4, s27, v0
	v_mul_lo_u32 v5, s26, v1
	v_mad_u64_u32 v[2:3], s[18:19], s26, v0, 0
	v_add3_u32 v3, v3, v5, v4
	v_lshlrev_b64 v[2:3], 2, v[2:3]
	v_mul_f32_e32 v5, s28, v18
	v_add_co_u32_e32 v2, vcc, v11, v2
	v_addc_co_u32_e32 v3, vcc, v12, v3, vcc
	global_load_dword v4, v[2:3], off
	s_waitcnt vmcnt(0)
	v_fmac_f32_e32 v5, s30, v4
	global_store_dword v[2:3], v5, off
.LBB93_24:                              ;   in Loop: Header=BB93_9 Depth=1
	s_mov_b64 s[18:19], 0
.LBB93_25:                              ;   in Loop: Header=BB93_9 Depth=1
	s_andn2_b64 vcc, exec, s[18:19]
	s_cbranch_vccnz .LBB93_8
; %bb.26:                               ;   in Loop: Header=BB93_9 Depth=1
	v_mul_f32_e32 v2, s28, v18
	s_mov_b64 s[18:19], -1
	s_and_b64 vcc, exec, s[8:9]
	s_cbranch_vccz .LBB93_28
; %bb.27:                               ;   in Loop: Header=BB93_9 Depth=1
	v_lshlrev_b64 v[3:4], 2, v[0:1]
	s_mov_b64 s[18:19], 0
	v_add_co_u32_e32 v3, vcc, v13, v3
	v_addc_co_u32_e32 v4, vcc, v14, v4, vcc
	global_store_dword v[3:4], v2, off
.LBB93_28:                              ;   in Loop: Header=BB93_9 Depth=1
	s_andn2_b64 vcc, exec, s[18:19]
	s_cbranch_vccnz .LBB93_8
; %bb.29:                               ;   in Loop: Header=BB93_9 Depth=1
	v_mul_lo_u32 v3, s27, v0
	v_mul_lo_u32 v4, s26, v1
	v_mad_u64_u32 v[0:1], s[18:19], s26, v0, 0
	v_add3_u32 v1, v1, v4, v3
	v_lshlrev_b64 v[0:1], 2, v[0:1]
	v_add_co_u32_e32 v0, vcc, v11, v0
	v_addc_co_u32_e32 v1, vcc, v12, v1, vcc
	global_store_dword v[0:1], v2, off
	s_branch .LBB93_8
.LBB93_30:
	s_endpgm
	.section	.rodata,"a",@progbits
	.p2align	6, 0x0
	.amdhsa_kernel _ZN9rocsparseL29bsrmmnt_small_blockdim_kernelILj64ELj8ELj2EiiaaffEEv20rocsparse_direction_T3_S2_llNS_24const_host_device_scalarIT7_EEPKT2_PKS2_PKT4_PKT5_llS5_PT6_ll16rocsparse_order_21rocsparse_index_base_b
		.amdhsa_group_segment_fixed_size 448
		.amdhsa_private_segment_fixed_size 0
		.amdhsa_kernarg_size 392
		.amdhsa_user_sgpr_count 6
		.amdhsa_user_sgpr_private_segment_buffer 1
		.amdhsa_user_sgpr_dispatch_ptr 0
		.amdhsa_user_sgpr_queue_ptr 0
		.amdhsa_user_sgpr_kernarg_segment_ptr 1
		.amdhsa_user_sgpr_dispatch_id 0
		.amdhsa_user_sgpr_flat_scratch_init 0
		.amdhsa_user_sgpr_private_segment_size 0
		.amdhsa_uses_dynamic_stack 0
		.amdhsa_system_sgpr_private_segment_wavefront_offset 0
		.amdhsa_system_sgpr_workgroup_id_x 1
		.amdhsa_system_sgpr_workgroup_id_y 0
		.amdhsa_system_sgpr_workgroup_id_z 0
		.amdhsa_system_sgpr_workgroup_info 0
		.amdhsa_system_vgpr_workitem_id 0
		.amdhsa_next_free_vgpr 28
		.amdhsa_next_free_sgpr 32
		.amdhsa_reserve_vcc 1
		.amdhsa_reserve_flat_scratch 0
		.amdhsa_float_round_mode_32 0
		.amdhsa_float_round_mode_16_64 0
		.amdhsa_float_denorm_mode_32 3
		.amdhsa_float_denorm_mode_16_64 3
		.amdhsa_dx10_clamp 1
		.amdhsa_ieee_mode 1
		.amdhsa_fp16_overflow 0
		.amdhsa_exception_fp_ieee_invalid_op 0
		.amdhsa_exception_fp_denorm_src 0
		.amdhsa_exception_fp_ieee_div_zero 0
		.amdhsa_exception_fp_ieee_overflow 0
		.amdhsa_exception_fp_ieee_underflow 0
		.amdhsa_exception_fp_ieee_inexact 0
		.amdhsa_exception_int_div_zero 0
	.end_amdhsa_kernel
	.section	.text._ZN9rocsparseL29bsrmmnt_small_blockdim_kernelILj64ELj8ELj2EiiaaffEEv20rocsparse_direction_T3_S2_llNS_24const_host_device_scalarIT7_EEPKT2_PKS2_PKT4_PKT5_llS5_PT6_ll16rocsparse_order_21rocsparse_index_base_b,"axG",@progbits,_ZN9rocsparseL29bsrmmnt_small_blockdim_kernelILj64ELj8ELj2EiiaaffEEv20rocsparse_direction_T3_S2_llNS_24const_host_device_scalarIT7_EEPKT2_PKS2_PKT4_PKT5_llS5_PT6_ll16rocsparse_order_21rocsparse_index_base_b,comdat
.Lfunc_end93:
	.size	_ZN9rocsparseL29bsrmmnt_small_blockdim_kernelILj64ELj8ELj2EiiaaffEEv20rocsparse_direction_T3_S2_llNS_24const_host_device_scalarIT7_EEPKT2_PKS2_PKT4_PKT5_llS5_PT6_ll16rocsparse_order_21rocsparse_index_base_b, .Lfunc_end93-_ZN9rocsparseL29bsrmmnt_small_blockdim_kernelILj64ELj8ELj2EiiaaffEEv20rocsparse_direction_T3_S2_llNS_24const_host_device_scalarIT7_EEPKT2_PKS2_PKT4_PKT5_llS5_PT6_ll16rocsparse_order_21rocsparse_index_base_b
                                        ; -- End function
	.set _ZN9rocsparseL29bsrmmnt_small_blockdim_kernelILj64ELj8ELj2EiiaaffEEv20rocsparse_direction_T3_S2_llNS_24const_host_device_scalarIT7_EEPKT2_PKS2_PKT4_PKT5_llS5_PT6_ll16rocsparse_order_21rocsparse_index_base_b.num_vgpr, 28
	.set _ZN9rocsparseL29bsrmmnt_small_blockdim_kernelILj64ELj8ELj2EiiaaffEEv20rocsparse_direction_T3_S2_llNS_24const_host_device_scalarIT7_EEPKT2_PKS2_PKT4_PKT5_llS5_PT6_ll16rocsparse_order_21rocsparse_index_base_b.num_agpr, 0
	.set _ZN9rocsparseL29bsrmmnt_small_blockdim_kernelILj64ELj8ELj2EiiaaffEEv20rocsparse_direction_T3_S2_llNS_24const_host_device_scalarIT7_EEPKT2_PKS2_PKT4_PKT5_llS5_PT6_ll16rocsparse_order_21rocsparse_index_base_b.numbered_sgpr, 32
	.set _ZN9rocsparseL29bsrmmnt_small_blockdim_kernelILj64ELj8ELj2EiiaaffEEv20rocsparse_direction_T3_S2_llNS_24const_host_device_scalarIT7_EEPKT2_PKS2_PKT4_PKT5_llS5_PT6_ll16rocsparse_order_21rocsparse_index_base_b.num_named_barrier, 0
	.set _ZN9rocsparseL29bsrmmnt_small_blockdim_kernelILj64ELj8ELj2EiiaaffEEv20rocsparse_direction_T3_S2_llNS_24const_host_device_scalarIT7_EEPKT2_PKS2_PKT4_PKT5_llS5_PT6_ll16rocsparse_order_21rocsparse_index_base_b.private_seg_size, 0
	.set _ZN9rocsparseL29bsrmmnt_small_blockdim_kernelILj64ELj8ELj2EiiaaffEEv20rocsparse_direction_T3_S2_llNS_24const_host_device_scalarIT7_EEPKT2_PKS2_PKT4_PKT5_llS5_PT6_ll16rocsparse_order_21rocsparse_index_base_b.uses_vcc, 1
	.set _ZN9rocsparseL29bsrmmnt_small_blockdim_kernelILj64ELj8ELj2EiiaaffEEv20rocsparse_direction_T3_S2_llNS_24const_host_device_scalarIT7_EEPKT2_PKS2_PKT4_PKT5_llS5_PT6_ll16rocsparse_order_21rocsparse_index_base_b.uses_flat_scratch, 0
	.set _ZN9rocsparseL29bsrmmnt_small_blockdim_kernelILj64ELj8ELj2EiiaaffEEv20rocsparse_direction_T3_S2_llNS_24const_host_device_scalarIT7_EEPKT2_PKS2_PKT4_PKT5_llS5_PT6_ll16rocsparse_order_21rocsparse_index_base_b.has_dyn_sized_stack, 0
	.set _ZN9rocsparseL29bsrmmnt_small_blockdim_kernelILj64ELj8ELj2EiiaaffEEv20rocsparse_direction_T3_S2_llNS_24const_host_device_scalarIT7_EEPKT2_PKS2_PKT4_PKT5_llS5_PT6_ll16rocsparse_order_21rocsparse_index_base_b.has_recursion, 0
	.set _ZN9rocsparseL29bsrmmnt_small_blockdim_kernelILj64ELj8ELj2EiiaaffEEv20rocsparse_direction_T3_S2_llNS_24const_host_device_scalarIT7_EEPKT2_PKS2_PKT4_PKT5_llS5_PT6_ll16rocsparse_order_21rocsparse_index_base_b.has_indirect_call, 0
	.section	.AMDGPU.csdata,"",@progbits
; Kernel info:
; codeLenInByte = 1300
; TotalNumSgprs: 36
; NumVgprs: 28
; ScratchSize: 0
; MemoryBound: 0
; FloatMode: 240
; IeeeMode: 1
; LDSByteSize: 448 bytes/workgroup (compile time only)
; SGPRBlocks: 4
; VGPRBlocks: 6
; NumSGPRsForWavesPerEU: 36
; NumVGPRsForWavesPerEU: 28
; Occupancy: 9
; WaveLimiterHint : 0
; COMPUTE_PGM_RSRC2:SCRATCH_EN: 0
; COMPUTE_PGM_RSRC2:USER_SGPR: 6
; COMPUTE_PGM_RSRC2:TRAP_HANDLER: 0
; COMPUTE_PGM_RSRC2:TGID_X_EN: 1
; COMPUTE_PGM_RSRC2:TGID_Y_EN: 0
; COMPUTE_PGM_RSRC2:TGID_Z_EN: 0
; COMPUTE_PGM_RSRC2:TIDIG_COMP_CNT: 0
	.section	.text._ZN9rocsparseL29bsrmmnt_small_blockdim_kernelILj64ELj16ELj2EiiaaffEEv20rocsparse_direction_T3_S2_llNS_24const_host_device_scalarIT7_EEPKT2_PKS2_PKT4_PKT5_llS5_PT6_ll16rocsparse_order_21rocsparse_index_base_b,"axG",@progbits,_ZN9rocsparseL29bsrmmnt_small_blockdim_kernelILj64ELj16ELj2EiiaaffEEv20rocsparse_direction_T3_S2_llNS_24const_host_device_scalarIT7_EEPKT2_PKS2_PKT4_PKT5_llS5_PT6_ll16rocsparse_order_21rocsparse_index_base_b,comdat
	.globl	_ZN9rocsparseL29bsrmmnt_small_blockdim_kernelILj64ELj16ELj2EiiaaffEEv20rocsparse_direction_T3_S2_llNS_24const_host_device_scalarIT7_EEPKT2_PKS2_PKT4_PKT5_llS5_PT6_ll16rocsparse_order_21rocsparse_index_base_b ; -- Begin function _ZN9rocsparseL29bsrmmnt_small_blockdim_kernelILj64ELj16ELj2EiiaaffEEv20rocsparse_direction_T3_S2_llNS_24const_host_device_scalarIT7_EEPKT2_PKS2_PKT4_PKT5_llS5_PT6_ll16rocsparse_order_21rocsparse_index_base_b
	.p2align	8
	.type	_ZN9rocsparseL29bsrmmnt_small_blockdim_kernelILj64ELj16ELj2EiiaaffEEv20rocsparse_direction_T3_S2_llNS_24const_host_device_scalarIT7_EEPKT2_PKS2_PKT4_PKT5_llS5_PT6_ll16rocsparse_order_21rocsparse_index_base_b,@function
_ZN9rocsparseL29bsrmmnt_small_blockdim_kernelILj64ELj16ELj2EiiaaffEEv20rocsparse_direction_T3_S2_llNS_24const_host_device_scalarIT7_EEPKT2_PKS2_PKT4_PKT5_llS5_PT6_ll16rocsparse_order_21rocsparse_index_base_b: ; @_ZN9rocsparseL29bsrmmnt_small_blockdim_kernelILj64ELj16ELj2EiiaaffEEv20rocsparse_direction_T3_S2_llNS_24const_host_device_scalarIT7_EEPKT2_PKS2_PKT4_PKT5_llS5_PT6_ll16rocsparse_order_21rocsparse_index_base_b
; %bb.0:
	s_load_dwordx4 s[16:19], s[4:5], 0x78
	s_load_dwordx2 s[28:29], s[4:5], 0x20
	s_load_dwordx2 s[30:31], s[4:5], 0x58
	s_waitcnt lgkmcnt(0)
	s_bitcmp1_b32 s18, 0
	s_cselect_b64 s[2:3], -1, 0
	s_xor_b64 s[0:1], s[2:3], -1
	s_and_b64 vcc, exec, s[2:3]
	s_cbranch_vccnz .LBB94_2
; %bb.1:
	s_load_dword s28, s[28:29], 0x0
.LBB94_2:
	s_andn2_b64 vcc, exec, s[0:1]
	s_cbranch_vccnz .LBB94_4
; %bb.3:
	s_load_dword s30, s[30:31], 0x0
.LBB94_4:
	s_waitcnt lgkmcnt(0)
	v_cmp_eq_f32_e64 s[0:1], s28, 0
	v_cmp_eq_f32_e64 s[2:3], s30, 1.0
	s_and_b64 s[0:1], s[0:1], s[2:3]
	s_and_b64 vcc, exec, s[0:1]
	s_cbranch_vccnz .LBB94_30
; %bb.5:
	s_load_dword s0, s[4:5], 0x94
	s_load_dwordx4 s[20:23], s[4:5], 0x0
	s_waitcnt lgkmcnt(0)
	s_and_b32 s0, s0, 0xffff
	s_mul_i32 s6, s6, s0
	v_add_u32_e32 v1, s6, v0
	v_lshrrev_b32_e32 v2, 5, v1
	v_cmp_gt_i32_e32 vcc, s21, v2
	s_and_saveexec_b64 s[0:1], vcc
	s_cbranch_execz .LBB94_30
; %bb.6:
	s_cmp_lt_i32 s22, 1
	s_cbranch_scc1 .LBB94_30
; %bb.7:
	s_load_dwordx8 s[8:15], s[4:5], 0x28
	v_lshlrev_b32_e32 v2, 2, v2
	v_lshrrev_b32_e32 v4, 4, v1
	v_bfe_u32 v1, v1, 4, 1
	v_and_b32_e32 v6, 15, v0
	s_waitcnt lgkmcnt(0)
	global_load_dwordx2 v[2:3], v2, s[8:9]
	s_load_dwordx4 s[24:27], s[4:5], 0x60
	s_load_dwordx2 s[6:7], s[4:5], 0x48
	v_lshrrev_b32_e32 v0, 4, v0
	s_cmp_eq_u32 s20, 0
	v_lshlrev_b32_e32 v7, 6, v0
	v_lshlrev_b32_e32 v9, 1, v1
	s_cselect_b64 vcc, -1, 0
	v_mul_u32_u24_e32 v0, 48, v0
	v_or_b32_e32 v5, 2, v1
	v_or_b32_e32 v8, 0x100, v0
	;; [unrolled: 1-line block ×3, first 2 shown]
	v_cndmask_b32_e32 v9, v1, v9, vcc
	s_waitcnt lgkmcnt(0)
	v_mad_u64_u32 v[0:1], s[0:1], s26, v4, 0
	v_lshlrev_b32_e32 v11, 2, v4
	v_cndmask_b32_e32 v10, v5, v10, vcc
	v_mov_b32_e32 v12, s25
	v_add_co_u32_e32 v11, vcc, s24, v11
	v_addc_co_u32_e32 v12, vcc, 0, v12, vcc
	v_mul_u32_u24_e32 v17, 3, v6
	s_cmp_lg_u32 s16, 1
	v_mov_b32_e32 v14, s25
	s_mov_b32 s23, 0
	v_cmp_neq_f32_e64 s[4:5], s30, 0
	s_cselect_b64 s[8:9], -1, 0
	v_add_u32_e32 v17, v8, v17
	s_waitcnt vmcnt(0)
	v_mad_u64_u32 v[4:5], s[0:1], s27, v4, v[1:2]
	v_subrev_u32_e32 v15, s17, v2
	v_subrev_u32_e32 v16, s17, v3
	v_mov_b32_e32 v1, v4
	v_lshlrev_b64 v[0:1], 2, v[0:1]
	v_cmp_lt_i32_e64 s[0:1], v2, v3
	v_add_co_u32_e32 v13, vcc, s24, v0
	v_addc_co_u32_e32 v14, vcc, v14, v1, vcc
	s_branch .LBB94_9
.LBB94_8:                               ;   in Loop: Header=BB94_9 Depth=1
	s_or_b64 exec, exec, s[2:3]
	s_add_i32 s23, s23, 16
	s_cmp_lt_i32 s23, s22
	s_cbranch_scc0 .LBB94_30
.LBB94_9:                               ; =>This Loop Header: Depth=1
                                        ;     Child Loop BB94_12 Depth 2
                                        ;       Child Loop BB94_16 Depth 3
	v_or_b32_e32 v0, s23, v6
	v_ashrrev_i32_e32 v1, 31, v0
	v_mov_b32_e32 v18, 0
	s_and_saveexec_b64 s[18:19], s[0:1]
	s_cbranch_execz .LBB94_18
; %bb.10:                               ;   in Loop: Header=BB94_9 Depth=1
	v_mov_b32_e32 v3, s15
	v_add_co_u32_e64 v2, s[2:3], s14, v0
	v_cmp_gt_i32_e32 vcc, s22, v0
	v_addc_co_u32_e64 v3, s[2:3], v3, v1, s[2:3]
	v_mov_b32_e32 v18, 0
	s_mov_b64 s[20:21], 0
	v_mov_b32_e32 v19, v15
	s_branch .LBB94_12
.LBB94_11:                              ;   in Loop: Header=BB94_12 Depth=2
	s_or_b64 exec, exec, s[2:3]
	v_add_u32_e32 v19, 16, v19
	v_cmp_ge_i32_e64 s[2:3], v19, v16
	s_or_b64 s[20:21], s[2:3], s[20:21]
	s_andn2_b64 exec, exec, s[20:21]
	s_cbranch_execz .LBB94_17
.LBB94_12:                              ;   Parent Loop BB94_9 Depth=1
                                        ; =>  This Loop Header: Depth=2
                                        ;       Child Loop BB94_16 Depth 3
	v_add_u32_e32 v4, v19, v6
	v_cmp_lt_i32_e64 s[2:3], v4, v16
	v_mov_b32_e32 v21, 0
	v_mov_b32_e32 v5, 0
	;; [unrolled: 1-line block ×3, first 2 shown]
	s_and_saveexec_b64 s[24:25], s[2:3]
	s_cbranch_execz .LBB94_14
; %bb.13:                               ;   in Loop: Header=BB94_12 Depth=2
	v_ashrrev_i32_e32 v5, 31, v4
	v_lshlrev_b64 v[20:21], 2, v[4:5]
	v_mov_b32_e32 v5, s11
	v_add_co_u32_e64 v20, s[2:3], s10, v20
	v_addc_co_u32_e64 v21, s[2:3], v5, v21, s[2:3]
	global_load_dword v21, v[20:21], off
	v_lshlrev_b32_e32 v4, 2, v4
	v_or_b32_e32 v22, v4, v9
	v_or_b32_e32 v4, v4, v10
	global_load_ubyte v5, v22, s[12:13]
	global_load_ubyte v20, v4, s[12:13]
	s_waitcnt vmcnt(2)
	v_subrev_u32_e32 v4, s17, v21
	v_lshlrev_b32_e32 v21, 1, v4
.LBB94_14:                              ;   in Loop: Header=BB94_12 Depth=2
	s_or_b64 exec, exec, s[24:25]
	v_lshl_or_b32 v4, v6, 2, v7
	ds_write_b32 v4, v21
	s_waitcnt vmcnt(1)
	ds_write_b8 v17, v5
	s_waitcnt vmcnt(0)
	ds_write_b8 v17, v20 offset:1
	s_waitcnt lgkmcnt(0)
	; wave barrier
	s_and_saveexec_b64 s[2:3], vcc
	s_cbranch_execz .LBB94_11
; %bb.15:                               ;   in Loop: Header=BB94_12 Depth=2
	s_mov_b32 s16, 0
	v_mov_b32_e32 v4, v8
.LBB94_16:                              ;   Parent Loop BB94_9 Depth=1
                                        ;     Parent Loop BB94_12 Depth=2
                                        ; =>    This Inner Loop Header: Depth=3
	v_add_u32_e32 v5, s16, v7
	ds_read_b64 v[20:21], v5
	s_add_i32 s16, s16, 8
	s_cmp_lg_u32 s16, 64
	s_waitcnt lgkmcnt(0)
	v_ashrrev_i32_e32 v5, 31, v20
	v_mul_lo_u32 v5, s6, v5
	v_mul_lo_u32 v24, s7, v20
	v_mad_u64_u32 v[22:23], s[24:25], s6, v20, v[2:3]
	v_add3_u32 v23, v24, v23, v5
	global_load_sbyte v5, v[22:23], off
	ds_read_u16 v22, v4
	ds_read_i8 v24, v4 offset:3
	ds_read_i8 v25, v4 offset:4
	v_add_u32_e32 v4, 6, v4
	s_waitcnt lgkmcnt(2)
	v_bfe_i32 v23, v22, 0, 8
	v_ashrrev_i16_e32 v26, 8, v22
	v_cvt_f32_i32_sdwa v22, sext(v23) dst_sel:DWORD dst_unused:UNUSED_PAD src0_sel:WORD_0
	s_waitcnt vmcnt(0)
	v_cvt_f32_i32_e32 v5, v5
	v_fmac_f32_e32 v18, v22, v5
	v_add_u32_e32 v5, 1, v20
	v_ashrrev_i32_e32 v20, 31, v5
	v_mul_lo_u32 v20, s6, v20
	v_mul_lo_u32 v27, s7, v5
	v_mad_u64_u32 v[22:23], s[24:25], s6, v5, v[2:3]
	v_add3_u32 v23, v27, v23, v20
	global_load_sbyte v5, v[22:23], off
	v_cvt_f32_i32_sdwa v20, sext(v26) dst_sel:DWORD dst_unused:UNUSED_PAD src0_sel:WORD_0
	v_mad_u64_u32 v[22:23], s[24:25], s6, v21, v[2:3]
	s_waitcnt vmcnt(0)
	v_cvt_f32_i32_e32 v5, v5
	v_fmac_f32_e32 v18, v20, v5
	v_ashrrev_i32_e32 v5, 31, v21
	v_mul_lo_u32 v5, s6, v5
	v_mul_lo_u32 v20, s7, v21
	v_add3_u32 v23, v20, v23, v5
	global_load_sbyte v5, v[22:23], off
	s_waitcnt lgkmcnt(1)
	v_cvt_f32_i32_e32 v20, v24
	s_waitcnt vmcnt(0)
	v_cvt_f32_i32_e32 v5, v5
	v_fmac_f32_e32 v18, v20, v5
	v_add_u32_e32 v5, 1, v21
	v_ashrrev_i32_e32 v20, 31, v5
	v_mul_lo_u32 v22, s6, v20
	v_mul_lo_u32 v23, s7, v5
	v_mad_u64_u32 v[20:21], s[24:25], s6, v5, v[2:3]
	v_add3_u32 v21, v23, v21, v22
	global_load_sbyte v5, v[20:21], off
	s_waitcnt lgkmcnt(0)
	v_cvt_f32_i32_e32 v20, v25
	s_waitcnt vmcnt(0)
	v_cvt_f32_i32_e32 v5, v5
	v_fmac_f32_e32 v18, v20, v5
	s_cbranch_scc1 .LBB94_16
	s_branch .LBB94_11
.LBB94_17:                              ;   in Loop: Header=BB94_9 Depth=1
	s_or_b64 exec, exec, s[20:21]
.LBB94_18:                              ;   in Loop: Header=BB94_9 Depth=1
	s_or_b64 exec, exec, s[18:19]
	v_cmp_gt_i32_e32 vcc, s22, v0
	s_and_saveexec_b64 s[2:3], vcc
	s_cbranch_execz .LBB94_8
; %bb.19:                               ;   in Loop: Header=BB94_9 Depth=1
	s_mov_b64 s[18:19], -1
	s_and_b64 vcc, exec, s[4:5]
	s_cbranch_vccz .LBB94_25
; %bb.20:                               ;   in Loop: Header=BB94_9 Depth=1
	s_and_b64 vcc, exec, s[8:9]
	s_cbranch_vccz .LBB94_22
; %bb.21:                               ;   in Loop: Header=BB94_9 Depth=1
	v_lshlrev_b64 v[2:3], 2, v[0:1]
	v_mul_f32_e32 v5, s28, v18
	v_add_co_u32_e32 v2, vcc, v13, v2
	v_addc_co_u32_e32 v3, vcc, v14, v3, vcc
	global_load_dword v4, v[2:3], off
	s_mov_b64 s[18:19], 0
	s_waitcnt vmcnt(0)
	v_fmac_f32_e32 v5, s30, v4
	global_store_dword v[2:3], v5, off
.LBB94_22:                              ;   in Loop: Header=BB94_9 Depth=1
	s_andn2_b64 vcc, exec, s[18:19]
	s_cbranch_vccnz .LBB94_24
; %bb.23:                               ;   in Loop: Header=BB94_9 Depth=1
	v_mul_lo_u32 v4, s27, v0
	v_mul_lo_u32 v5, s26, v1
	v_mad_u64_u32 v[2:3], s[18:19], s26, v0, 0
	v_add3_u32 v3, v3, v5, v4
	v_lshlrev_b64 v[2:3], 2, v[2:3]
	v_mul_f32_e32 v5, s28, v18
	v_add_co_u32_e32 v2, vcc, v11, v2
	v_addc_co_u32_e32 v3, vcc, v12, v3, vcc
	global_load_dword v4, v[2:3], off
	s_waitcnt vmcnt(0)
	v_fmac_f32_e32 v5, s30, v4
	global_store_dword v[2:3], v5, off
.LBB94_24:                              ;   in Loop: Header=BB94_9 Depth=1
	s_mov_b64 s[18:19], 0
.LBB94_25:                              ;   in Loop: Header=BB94_9 Depth=1
	s_andn2_b64 vcc, exec, s[18:19]
	s_cbranch_vccnz .LBB94_8
; %bb.26:                               ;   in Loop: Header=BB94_9 Depth=1
	v_mul_f32_e32 v2, s28, v18
	s_mov_b64 s[18:19], -1
	s_and_b64 vcc, exec, s[8:9]
	s_cbranch_vccz .LBB94_28
; %bb.27:                               ;   in Loop: Header=BB94_9 Depth=1
	v_lshlrev_b64 v[3:4], 2, v[0:1]
	s_mov_b64 s[18:19], 0
	v_add_co_u32_e32 v3, vcc, v13, v3
	v_addc_co_u32_e32 v4, vcc, v14, v4, vcc
	global_store_dword v[3:4], v2, off
.LBB94_28:                              ;   in Loop: Header=BB94_9 Depth=1
	s_andn2_b64 vcc, exec, s[18:19]
	s_cbranch_vccnz .LBB94_8
; %bb.29:                               ;   in Loop: Header=BB94_9 Depth=1
	v_mul_lo_u32 v3, s27, v0
	v_mul_lo_u32 v4, s26, v1
	v_mad_u64_u32 v[0:1], s[18:19], s26, v0, 0
	v_add3_u32 v1, v1, v4, v3
	v_lshlrev_b64 v[0:1], 2, v[0:1]
	v_add_co_u32_e32 v0, vcc, v11, v0
	v_addc_co_u32_e32 v1, vcc, v12, v1, vcc
	global_store_dword v[0:1], v2, off
	s_branch .LBB94_8
.LBB94_30:
	s_endpgm
	.section	.rodata,"a",@progbits
	.p2align	6, 0x0
	.amdhsa_kernel _ZN9rocsparseL29bsrmmnt_small_blockdim_kernelILj64ELj16ELj2EiiaaffEEv20rocsparse_direction_T3_S2_llNS_24const_host_device_scalarIT7_EEPKT2_PKS2_PKT4_PKT5_llS5_PT6_ll16rocsparse_order_21rocsparse_index_base_b
		.amdhsa_group_segment_fixed_size 448
		.amdhsa_private_segment_fixed_size 0
		.amdhsa_kernarg_size 392
		.amdhsa_user_sgpr_count 6
		.amdhsa_user_sgpr_private_segment_buffer 1
		.amdhsa_user_sgpr_dispatch_ptr 0
		.amdhsa_user_sgpr_queue_ptr 0
		.amdhsa_user_sgpr_kernarg_segment_ptr 1
		.amdhsa_user_sgpr_dispatch_id 0
		.amdhsa_user_sgpr_flat_scratch_init 0
		.amdhsa_user_sgpr_private_segment_size 0
		.amdhsa_uses_dynamic_stack 0
		.amdhsa_system_sgpr_private_segment_wavefront_offset 0
		.amdhsa_system_sgpr_workgroup_id_x 1
		.amdhsa_system_sgpr_workgroup_id_y 0
		.amdhsa_system_sgpr_workgroup_id_z 0
		.amdhsa_system_sgpr_workgroup_info 0
		.amdhsa_system_vgpr_workitem_id 0
		.amdhsa_next_free_vgpr 28
		.amdhsa_next_free_sgpr 32
		.amdhsa_reserve_vcc 1
		.amdhsa_reserve_flat_scratch 0
		.amdhsa_float_round_mode_32 0
		.amdhsa_float_round_mode_16_64 0
		.amdhsa_float_denorm_mode_32 3
		.amdhsa_float_denorm_mode_16_64 3
		.amdhsa_dx10_clamp 1
		.amdhsa_ieee_mode 1
		.amdhsa_fp16_overflow 0
		.amdhsa_exception_fp_ieee_invalid_op 0
		.amdhsa_exception_fp_denorm_src 0
		.amdhsa_exception_fp_ieee_div_zero 0
		.amdhsa_exception_fp_ieee_overflow 0
		.amdhsa_exception_fp_ieee_underflow 0
		.amdhsa_exception_fp_ieee_inexact 0
		.amdhsa_exception_int_div_zero 0
	.end_amdhsa_kernel
	.section	.text._ZN9rocsparseL29bsrmmnt_small_blockdim_kernelILj64ELj16ELj2EiiaaffEEv20rocsparse_direction_T3_S2_llNS_24const_host_device_scalarIT7_EEPKT2_PKS2_PKT4_PKT5_llS5_PT6_ll16rocsparse_order_21rocsparse_index_base_b,"axG",@progbits,_ZN9rocsparseL29bsrmmnt_small_blockdim_kernelILj64ELj16ELj2EiiaaffEEv20rocsparse_direction_T3_S2_llNS_24const_host_device_scalarIT7_EEPKT2_PKS2_PKT4_PKT5_llS5_PT6_ll16rocsparse_order_21rocsparse_index_base_b,comdat
.Lfunc_end94:
	.size	_ZN9rocsparseL29bsrmmnt_small_blockdim_kernelILj64ELj16ELj2EiiaaffEEv20rocsparse_direction_T3_S2_llNS_24const_host_device_scalarIT7_EEPKT2_PKS2_PKT4_PKT5_llS5_PT6_ll16rocsparse_order_21rocsparse_index_base_b, .Lfunc_end94-_ZN9rocsparseL29bsrmmnt_small_blockdim_kernelILj64ELj16ELj2EiiaaffEEv20rocsparse_direction_T3_S2_llNS_24const_host_device_scalarIT7_EEPKT2_PKS2_PKT4_PKT5_llS5_PT6_ll16rocsparse_order_21rocsparse_index_base_b
                                        ; -- End function
	.set _ZN9rocsparseL29bsrmmnt_small_blockdim_kernelILj64ELj16ELj2EiiaaffEEv20rocsparse_direction_T3_S2_llNS_24const_host_device_scalarIT7_EEPKT2_PKS2_PKT4_PKT5_llS5_PT6_ll16rocsparse_order_21rocsparse_index_base_b.num_vgpr, 28
	.set _ZN9rocsparseL29bsrmmnt_small_blockdim_kernelILj64ELj16ELj2EiiaaffEEv20rocsparse_direction_T3_S2_llNS_24const_host_device_scalarIT7_EEPKT2_PKS2_PKT4_PKT5_llS5_PT6_ll16rocsparse_order_21rocsparse_index_base_b.num_agpr, 0
	.set _ZN9rocsparseL29bsrmmnt_small_blockdim_kernelILj64ELj16ELj2EiiaaffEEv20rocsparse_direction_T3_S2_llNS_24const_host_device_scalarIT7_EEPKT2_PKS2_PKT4_PKT5_llS5_PT6_ll16rocsparse_order_21rocsparse_index_base_b.numbered_sgpr, 32
	.set _ZN9rocsparseL29bsrmmnt_small_blockdim_kernelILj64ELj16ELj2EiiaaffEEv20rocsparse_direction_T3_S2_llNS_24const_host_device_scalarIT7_EEPKT2_PKS2_PKT4_PKT5_llS5_PT6_ll16rocsparse_order_21rocsparse_index_base_b.num_named_barrier, 0
	.set _ZN9rocsparseL29bsrmmnt_small_blockdim_kernelILj64ELj16ELj2EiiaaffEEv20rocsparse_direction_T3_S2_llNS_24const_host_device_scalarIT7_EEPKT2_PKS2_PKT4_PKT5_llS5_PT6_ll16rocsparse_order_21rocsparse_index_base_b.private_seg_size, 0
	.set _ZN9rocsparseL29bsrmmnt_small_blockdim_kernelILj64ELj16ELj2EiiaaffEEv20rocsparse_direction_T3_S2_llNS_24const_host_device_scalarIT7_EEPKT2_PKS2_PKT4_PKT5_llS5_PT6_ll16rocsparse_order_21rocsparse_index_base_b.uses_vcc, 1
	.set _ZN9rocsparseL29bsrmmnt_small_blockdim_kernelILj64ELj16ELj2EiiaaffEEv20rocsparse_direction_T3_S2_llNS_24const_host_device_scalarIT7_EEPKT2_PKS2_PKT4_PKT5_llS5_PT6_ll16rocsparse_order_21rocsparse_index_base_b.uses_flat_scratch, 0
	.set _ZN9rocsparseL29bsrmmnt_small_blockdim_kernelILj64ELj16ELj2EiiaaffEEv20rocsparse_direction_T3_S2_llNS_24const_host_device_scalarIT7_EEPKT2_PKS2_PKT4_PKT5_llS5_PT6_ll16rocsparse_order_21rocsparse_index_base_b.has_dyn_sized_stack, 0
	.set _ZN9rocsparseL29bsrmmnt_small_blockdim_kernelILj64ELj16ELj2EiiaaffEEv20rocsparse_direction_T3_S2_llNS_24const_host_device_scalarIT7_EEPKT2_PKS2_PKT4_PKT5_llS5_PT6_ll16rocsparse_order_21rocsparse_index_base_b.has_recursion, 0
	.set _ZN9rocsparseL29bsrmmnt_small_blockdim_kernelILj64ELj16ELj2EiiaaffEEv20rocsparse_direction_T3_S2_llNS_24const_host_device_scalarIT7_EEPKT2_PKS2_PKT4_PKT5_llS5_PT6_ll16rocsparse_order_21rocsparse_index_base_b.has_indirect_call, 0
	.section	.AMDGPU.csdata,"",@progbits
; Kernel info:
; codeLenInByte = 1300
; TotalNumSgprs: 36
; NumVgprs: 28
; ScratchSize: 0
; MemoryBound: 0
; FloatMode: 240
; IeeeMode: 1
; LDSByteSize: 448 bytes/workgroup (compile time only)
; SGPRBlocks: 4
; VGPRBlocks: 6
; NumSGPRsForWavesPerEU: 36
; NumVGPRsForWavesPerEU: 28
; Occupancy: 9
; WaveLimiterHint : 0
; COMPUTE_PGM_RSRC2:SCRATCH_EN: 0
; COMPUTE_PGM_RSRC2:USER_SGPR: 6
; COMPUTE_PGM_RSRC2:TRAP_HANDLER: 0
; COMPUTE_PGM_RSRC2:TGID_X_EN: 1
; COMPUTE_PGM_RSRC2:TGID_Y_EN: 0
; COMPUTE_PGM_RSRC2:TGID_Z_EN: 0
; COMPUTE_PGM_RSRC2:TIDIG_COMP_CNT: 0
	.section	.text._ZN9rocsparseL29bsrmmnt_small_blockdim_kernelILj64ELj32ELj2EiiaaffEEv20rocsparse_direction_T3_S2_llNS_24const_host_device_scalarIT7_EEPKT2_PKS2_PKT4_PKT5_llS5_PT6_ll16rocsparse_order_21rocsparse_index_base_b,"axG",@progbits,_ZN9rocsparseL29bsrmmnt_small_blockdim_kernelILj64ELj32ELj2EiiaaffEEv20rocsparse_direction_T3_S2_llNS_24const_host_device_scalarIT7_EEPKT2_PKS2_PKT4_PKT5_llS5_PT6_ll16rocsparse_order_21rocsparse_index_base_b,comdat
	.globl	_ZN9rocsparseL29bsrmmnt_small_blockdim_kernelILj64ELj32ELj2EiiaaffEEv20rocsparse_direction_T3_S2_llNS_24const_host_device_scalarIT7_EEPKT2_PKS2_PKT4_PKT5_llS5_PT6_ll16rocsparse_order_21rocsparse_index_base_b ; -- Begin function _ZN9rocsparseL29bsrmmnt_small_blockdim_kernelILj64ELj32ELj2EiiaaffEEv20rocsparse_direction_T3_S2_llNS_24const_host_device_scalarIT7_EEPKT2_PKS2_PKT4_PKT5_llS5_PT6_ll16rocsparse_order_21rocsparse_index_base_b
	.p2align	8
	.type	_ZN9rocsparseL29bsrmmnt_small_blockdim_kernelILj64ELj32ELj2EiiaaffEEv20rocsparse_direction_T3_S2_llNS_24const_host_device_scalarIT7_EEPKT2_PKS2_PKT4_PKT5_llS5_PT6_ll16rocsparse_order_21rocsparse_index_base_b,@function
_ZN9rocsparseL29bsrmmnt_small_blockdim_kernelILj64ELj32ELj2EiiaaffEEv20rocsparse_direction_T3_S2_llNS_24const_host_device_scalarIT7_EEPKT2_PKS2_PKT4_PKT5_llS5_PT6_ll16rocsparse_order_21rocsparse_index_base_b: ; @_ZN9rocsparseL29bsrmmnt_small_blockdim_kernelILj64ELj32ELj2EiiaaffEEv20rocsparse_direction_T3_S2_llNS_24const_host_device_scalarIT7_EEPKT2_PKS2_PKT4_PKT5_llS5_PT6_ll16rocsparse_order_21rocsparse_index_base_b
; %bb.0:
	s_load_dwordx4 s[16:19], s[4:5], 0x78
	s_load_dwordx2 s[28:29], s[4:5], 0x20
	s_load_dwordx2 s[30:31], s[4:5], 0x58
	s_waitcnt lgkmcnt(0)
	s_bitcmp1_b32 s18, 0
	s_cselect_b64 s[2:3], -1, 0
	s_xor_b64 s[0:1], s[2:3], -1
	s_and_b64 vcc, exec, s[2:3]
	s_cbranch_vccnz .LBB95_2
; %bb.1:
	s_load_dword s28, s[28:29], 0x0
.LBB95_2:
	s_andn2_b64 vcc, exec, s[0:1]
	s_cbranch_vccnz .LBB95_4
; %bb.3:
	s_load_dword s30, s[30:31], 0x0
.LBB95_4:
	s_waitcnt lgkmcnt(0)
	v_cmp_eq_f32_e64 s[0:1], s28, 0
	v_cmp_eq_f32_e64 s[2:3], s30, 1.0
	s_and_b64 s[0:1], s[0:1], s[2:3]
	s_and_b64 vcc, exec, s[0:1]
	s_cbranch_vccnz .LBB95_30
; %bb.5:
	s_load_dword s0, s[4:5], 0x94
	s_load_dwordx4 s[20:23], s[4:5], 0x0
	s_waitcnt lgkmcnt(0)
	s_and_b32 s0, s0, 0xffff
	s_mul_i32 s6, s6, s0
	v_add_u32_e32 v1, s6, v0
	v_lshrrev_b32_e32 v2, 6, v1
	v_cmp_gt_i32_e32 vcc, s21, v2
	s_and_saveexec_b64 s[0:1], vcc
	s_cbranch_execz .LBB95_30
; %bb.6:
	s_cmp_lt_i32 s22, 1
	s_cbranch_scc1 .LBB95_30
; %bb.7:
	s_load_dwordx8 s[8:15], s[4:5], 0x28
	v_lshlrev_b32_e32 v2, 2, v2
	v_lshrrev_b32_e32 v4, 5, v1
	v_bfe_u32 v1, v1, 5, 1
	v_and_b32_e32 v6, 31, v0
	s_waitcnt lgkmcnt(0)
	global_load_dwordx2 v[2:3], v2, s[8:9]
	s_load_dwordx4 s[24:27], s[4:5], 0x60
	s_load_dwordx2 s[6:7], s[4:5], 0x48
	v_lshrrev_b32_e32 v0, 5, v0
	s_cmp_eq_u32 s20, 0
	v_lshlrev_b32_e32 v7, 7, v0
	v_lshlrev_b32_e32 v9, 1, v1
	s_cselect_b64 vcc, -1, 0
	v_mul_u32_u24_e32 v0, 0x60, v0
	v_or_b32_e32 v5, 2, v1
	v_or_b32_e32 v8, 0x100, v0
	;; [unrolled: 1-line block ×3, first 2 shown]
	v_cndmask_b32_e32 v9, v1, v9, vcc
	s_waitcnt lgkmcnt(0)
	v_mad_u64_u32 v[0:1], s[0:1], s26, v4, 0
	v_lshlrev_b32_e32 v11, 2, v4
	v_cndmask_b32_e32 v10, v5, v10, vcc
	v_mov_b32_e32 v12, s25
	v_add_co_u32_e32 v11, vcc, s24, v11
	v_addc_co_u32_e32 v12, vcc, 0, v12, vcc
	v_mul_u32_u24_e32 v17, 3, v6
	s_cmp_lg_u32 s16, 1
	v_mov_b32_e32 v14, s25
	s_mov_b32 s23, 0
	v_cmp_neq_f32_e64 s[4:5], s30, 0
	s_cselect_b64 s[8:9], -1, 0
	v_add_u32_e32 v17, v8, v17
	s_waitcnt vmcnt(0)
	v_mad_u64_u32 v[4:5], s[0:1], s27, v4, v[1:2]
	v_subrev_u32_e32 v15, s17, v2
	v_subrev_u32_e32 v16, s17, v3
	v_mov_b32_e32 v1, v4
	v_lshlrev_b64 v[0:1], 2, v[0:1]
	v_cmp_lt_i32_e64 s[0:1], v2, v3
	v_add_co_u32_e32 v13, vcc, s24, v0
	v_addc_co_u32_e32 v14, vcc, v14, v1, vcc
	s_branch .LBB95_9
.LBB95_8:                               ;   in Loop: Header=BB95_9 Depth=1
	s_or_b64 exec, exec, s[2:3]
	s_add_i32 s23, s23, 32
	s_cmp_lt_i32 s23, s22
	s_cbranch_scc0 .LBB95_30
.LBB95_9:                               ; =>This Loop Header: Depth=1
                                        ;     Child Loop BB95_12 Depth 2
                                        ;       Child Loop BB95_16 Depth 3
	v_or_b32_e32 v0, s23, v6
	v_ashrrev_i32_e32 v1, 31, v0
	v_mov_b32_e32 v18, 0
	s_and_saveexec_b64 s[18:19], s[0:1]
	s_cbranch_execz .LBB95_18
; %bb.10:                               ;   in Loop: Header=BB95_9 Depth=1
	v_mov_b32_e32 v3, s15
	v_add_co_u32_e64 v2, s[2:3], s14, v0
	v_cmp_gt_i32_e32 vcc, s22, v0
	v_addc_co_u32_e64 v3, s[2:3], v3, v1, s[2:3]
	v_mov_b32_e32 v18, 0
	s_mov_b64 s[20:21], 0
	v_mov_b32_e32 v19, v15
	s_branch .LBB95_12
.LBB95_11:                              ;   in Loop: Header=BB95_12 Depth=2
	s_or_b64 exec, exec, s[2:3]
	v_add_u32_e32 v19, 32, v19
	v_cmp_ge_i32_e64 s[2:3], v19, v16
	s_or_b64 s[20:21], s[2:3], s[20:21]
	s_andn2_b64 exec, exec, s[20:21]
	s_cbranch_execz .LBB95_17
.LBB95_12:                              ;   Parent Loop BB95_9 Depth=1
                                        ; =>  This Loop Header: Depth=2
                                        ;       Child Loop BB95_16 Depth 3
	v_add_u32_e32 v4, v19, v6
	v_cmp_lt_i32_e64 s[2:3], v4, v16
	v_mov_b32_e32 v21, 0
	v_mov_b32_e32 v5, 0
	;; [unrolled: 1-line block ×3, first 2 shown]
	s_and_saveexec_b64 s[24:25], s[2:3]
	s_cbranch_execz .LBB95_14
; %bb.13:                               ;   in Loop: Header=BB95_12 Depth=2
	v_ashrrev_i32_e32 v5, 31, v4
	v_lshlrev_b64 v[20:21], 2, v[4:5]
	v_mov_b32_e32 v5, s11
	v_add_co_u32_e64 v20, s[2:3], s10, v20
	v_addc_co_u32_e64 v21, s[2:3], v5, v21, s[2:3]
	global_load_dword v21, v[20:21], off
	v_lshlrev_b32_e32 v4, 2, v4
	v_or_b32_e32 v22, v4, v9
	v_or_b32_e32 v4, v4, v10
	global_load_ubyte v5, v22, s[12:13]
	global_load_ubyte v20, v4, s[12:13]
	s_waitcnt vmcnt(2)
	v_subrev_u32_e32 v4, s17, v21
	v_lshlrev_b32_e32 v21, 1, v4
.LBB95_14:                              ;   in Loop: Header=BB95_12 Depth=2
	s_or_b64 exec, exec, s[24:25]
	v_lshl_or_b32 v4, v6, 2, v7
	ds_write_b32 v4, v21
	s_waitcnt vmcnt(1)
	ds_write_b8 v17, v5
	s_waitcnt vmcnt(0)
	ds_write_b8 v17, v20 offset:1
	s_waitcnt lgkmcnt(0)
	; wave barrier
	s_and_saveexec_b64 s[2:3], vcc
	s_cbranch_execz .LBB95_11
; %bb.15:                               ;   in Loop: Header=BB95_12 Depth=2
	s_mov_b32 s16, 0
	v_mov_b32_e32 v4, v8
.LBB95_16:                              ;   Parent Loop BB95_9 Depth=1
                                        ;     Parent Loop BB95_12 Depth=2
                                        ; =>    This Inner Loop Header: Depth=3
	v_add_u32_e32 v5, s16, v7
	ds_read_b64 v[20:21], v5
	s_add_i32 s16, s16, 8
	s_cmpk_lg_i32 s16, 0x80
	s_waitcnt lgkmcnt(0)
	v_ashrrev_i32_e32 v5, 31, v20
	v_mul_lo_u32 v5, s6, v5
	v_mul_lo_u32 v24, s7, v20
	v_mad_u64_u32 v[22:23], s[24:25], s6, v20, v[2:3]
	v_add3_u32 v23, v24, v23, v5
	global_load_sbyte v5, v[22:23], off
	ds_read_u16 v22, v4
	ds_read_i8 v24, v4 offset:3
	ds_read_i8 v25, v4 offset:4
	v_add_u32_e32 v4, 6, v4
	s_waitcnt lgkmcnt(2)
	v_bfe_i32 v23, v22, 0, 8
	v_ashrrev_i16_e32 v26, 8, v22
	v_cvt_f32_i32_sdwa v22, sext(v23) dst_sel:DWORD dst_unused:UNUSED_PAD src0_sel:WORD_0
	s_waitcnt vmcnt(0)
	v_cvt_f32_i32_e32 v5, v5
	v_fmac_f32_e32 v18, v22, v5
	v_add_u32_e32 v5, 1, v20
	v_ashrrev_i32_e32 v20, 31, v5
	v_mul_lo_u32 v20, s6, v20
	v_mul_lo_u32 v27, s7, v5
	v_mad_u64_u32 v[22:23], s[24:25], s6, v5, v[2:3]
	v_add3_u32 v23, v27, v23, v20
	global_load_sbyte v5, v[22:23], off
	v_cvt_f32_i32_sdwa v20, sext(v26) dst_sel:DWORD dst_unused:UNUSED_PAD src0_sel:WORD_0
	v_mad_u64_u32 v[22:23], s[24:25], s6, v21, v[2:3]
	s_waitcnt vmcnt(0)
	v_cvt_f32_i32_e32 v5, v5
	v_fmac_f32_e32 v18, v20, v5
	v_ashrrev_i32_e32 v5, 31, v21
	v_mul_lo_u32 v5, s6, v5
	v_mul_lo_u32 v20, s7, v21
	v_add3_u32 v23, v20, v23, v5
	global_load_sbyte v5, v[22:23], off
	s_waitcnt lgkmcnt(1)
	v_cvt_f32_i32_e32 v20, v24
	s_waitcnt vmcnt(0)
	v_cvt_f32_i32_e32 v5, v5
	v_fmac_f32_e32 v18, v20, v5
	v_add_u32_e32 v5, 1, v21
	v_ashrrev_i32_e32 v20, 31, v5
	v_mul_lo_u32 v22, s6, v20
	v_mul_lo_u32 v23, s7, v5
	v_mad_u64_u32 v[20:21], s[24:25], s6, v5, v[2:3]
	v_add3_u32 v21, v23, v21, v22
	global_load_sbyte v5, v[20:21], off
	s_waitcnt lgkmcnt(0)
	v_cvt_f32_i32_e32 v20, v25
	s_waitcnt vmcnt(0)
	v_cvt_f32_i32_e32 v5, v5
	v_fmac_f32_e32 v18, v20, v5
	s_cbranch_scc1 .LBB95_16
	s_branch .LBB95_11
.LBB95_17:                              ;   in Loop: Header=BB95_9 Depth=1
	s_or_b64 exec, exec, s[20:21]
.LBB95_18:                              ;   in Loop: Header=BB95_9 Depth=1
	s_or_b64 exec, exec, s[18:19]
	v_cmp_gt_i32_e32 vcc, s22, v0
	s_and_saveexec_b64 s[2:3], vcc
	s_cbranch_execz .LBB95_8
; %bb.19:                               ;   in Loop: Header=BB95_9 Depth=1
	s_mov_b64 s[18:19], -1
	s_and_b64 vcc, exec, s[4:5]
	s_cbranch_vccz .LBB95_25
; %bb.20:                               ;   in Loop: Header=BB95_9 Depth=1
	s_and_b64 vcc, exec, s[8:9]
	s_cbranch_vccz .LBB95_22
; %bb.21:                               ;   in Loop: Header=BB95_9 Depth=1
	v_lshlrev_b64 v[2:3], 2, v[0:1]
	v_mul_f32_e32 v5, s28, v18
	v_add_co_u32_e32 v2, vcc, v13, v2
	v_addc_co_u32_e32 v3, vcc, v14, v3, vcc
	global_load_dword v4, v[2:3], off
	s_mov_b64 s[18:19], 0
	s_waitcnt vmcnt(0)
	v_fmac_f32_e32 v5, s30, v4
	global_store_dword v[2:3], v5, off
.LBB95_22:                              ;   in Loop: Header=BB95_9 Depth=1
	s_andn2_b64 vcc, exec, s[18:19]
	s_cbranch_vccnz .LBB95_24
; %bb.23:                               ;   in Loop: Header=BB95_9 Depth=1
	v_mul_lo_u32 v4, s27, v0
	v_mul_lo_u32 v5, s26, v1
	v_mad_u64_u32 v[2:3], s[18:19], s26, v0, 0
	v_add3_u32 v3, v3, v5, v4
	v_lshlrev_b64 v[2:3], 2, v[2:3]
	v_mul_f32_e32 v5, s28, v18
	v_add_co_u32_e32 v2, vcc, v11, v2
	v_addc_co_u32_e32 v3, vcc, v12, v3, vcc
	global_load_dword v4, v[2:3], off
	s_waitcnt vmcnt(0)
	v_fmac_f32_e32 v5, s30, v4
	global_store_dword v[2:3], v5, off
.LBB95_24:                              ;   in Loop: Header=BB95_9 Depth=1
	s_mov_b64 s[18:19], 0
.LBB95_25:                              ;   in Loop: Header=BB95_9 Depth=1
	s_andn2_b64 vcc, exec, s[18:19]
	s_cbranch_vccnz .LBB95_8
; %bb.26:                               ;   in Loop: Header=BB95_9 Depth=1
	v_mul_f32_e32 v2, s28, v18
	s_mov_b64 s[18:19], -1
	s_and_b64 vcc, exec, s[8:9]
	s_cbranch_vccz .LBB95_28
; %bb.27:                               ;   in Loop: Header=BB95_9 Depth=1
	v_lshlrev_b64 v[3:4], 2, v[0:1]
	s_mov_b64 s[18:19], 0
	v_add_co_u32_e32 v3, vcc, v13, v3
	v_addc_co_u32_e32 v4, vcc, v14, v4, vcc
	global_store_dword v[3:4], v2, off
.LBB95_28:                              ;   in Loop: Header=BB95_9 Depth=1
	s_andn2_b64 vcc, exec, s[18:19]
	s_cbranch_vccnz .LBB95_8
; %bb.29:                               ;   in Loop: Header=BB95_9 Depth=1
	v_mul_lo_u32 v3, s27, v0
	v_mul_lo_u32 v4, s26, v1
	v_mad_u64_u32 v[0:1], s[18:19], s26, v0, 0
	v_add3_u32 v1, v1, v4, v3
	v_lshlrev_b64 v[0:1], 2, v[0:1]
	v_add_co_u32_e32 v0, vcc, v11, v0
	v_addc_co_u32_e32 v1, vcc, v12, v1, vcc
	global_store_dword v[0:1], v2, off
	s_branch .LBB95_8
.LBB95_30:
	s_endpgm
	.section	.rodata,"a",@progbits
	.p2align	6, 0x0
	.amdhsa_kernel _ZN9rocsparseL29bsrmmnt_small_blockdim_kernelILj64ELj32ELj2EiiaaffEEv20rocsparse_direction_T3_S2_llNS_24const_host_device_scalarIT7_EEPKT2_PKS2_PKT4_PKT5_llS5_PT6_ll16rocsparse_order_21rocsparse_index_base_b
		.amdhsa_group_segment_fixed_size 448
		.amdhsa_private_segment_fixed_size 0
		.amdhsa_kernarg_size 392
		.amdhsa_user_sgpr_count 6
		.amdhsa_user_sgpr_private_segment_buffer 1
		.amdhsa_user_sgpr_dispatch_ptr 0
		.amdhsa_user_sgpr_queue_ptr 0
		.amdhsa_user_sgpr_kernarg_segment_ptr 1
		.amdhsa_user_sgpr_dispatch_id 0
		.amdhsa_user_sgpr_flat_scratch_init 0
		.amdhsa_user_sgpr_private_segment_size 0
		.amdhsa_uses_dynamic_stack 0
		.amdhsa_system_sgpr_private_segment_wavefront_offset 0
		.amdhsa_system_sgpr_workgroup_id_x 1
		.amdhsa_system_sgpr_workgroup_id_y 0
		.amdhsa_system_sgpr_workgroup_id_z 0
		.amdhsa_system_sgpr_workgroup_info 0
		.amdhsa_system_vgpr_workitem_id 0
		.amdhsa_next_free_vgpr 28
		.amdhsa_next_free_sgpr 32
		.amdhsa_reserve_vcc 1
		.amdhsa_reserve_flat_scratch 0
		.amdhsa_float_round_mode_32 0
		.amdhsa_float_round_mode_16_64 0
		.amdhsa_float_denorm_mode_32 3
		.amdhsa_float_denorm_mode_16_64 3
		.amdhsa_dx10_clamp 1
		.amdhsa_ieee_mode 1
		.amdhsa_fp16_overflow 0
		.amdhsa_exception_fp_ieee_invalid_op 0
		.amdhsa_exception_fp_denorm_src 0
		.amdhsa_exception_fp_ieee_div_zero 0
		.amdhsa_exception_fp_ieee_overflow 0
		.amdhsa_exception_fp_ieee_underflow 0
		.amdhsa_exception_fp_ieee_inexact 0
		.amdhsa_exception_int_div_zero 0
	.end_amdhsa_kernel
	.section	.text._ZN9rocsparseL29bsrmmnt_small_blockdim_kernelILj64ELj32ELj2EiiaaffEEv20rocsparse_direction_T3_S2_llNS_24const_host_device_scalarIT7_EEPKT2_PKS2_PKT4_PKT5_llS5_PT6_ll16rocsparse_order_21rocsparse_index_base_b,"axG",@progbits,_ZN9rocsparseL29bsrmmnt_small_blockdim_kernelILj64ELj32ELj2EiiaaffEEv20rocsparse_direction_T3_S2_llNS_24const_host_device_scalarIT7_EEPKT2_PKS2_PKT4_PKT5_llS5_PT6_ll16rocsparse_order_21rocsparse_index_base_b,comdat
.Lfunc_end95:
	.size	_ZN9rocsparseL29bsrmmnt_small_blockdim_kernelILj64ELj32ELj2EiiaaffEEv20rocsparse_direction_T3_S2_llNS_24const_host_device_scalarIT7_EEPKT2_PKS2_PKT4_PKT5_llS5_PT6_ll16rocsparse_order_21rocsparse_index_base_b, .Lfunc_end95-_ZN9rocsparseL29bsrmmnt_small_blockdim_kernelILj64ELj32ELj2EiiaaffEEv20rocsparse_direction_T3_S2_llNS_24const_host_device_scalarIT7_EEPKT2_PKS2_PKT4_PKT5_llS5_PT6_ll16rocsparse_order_21rocsparse_index_base_b
                                        ; -- End function
	.set _ZN9rocsparseL29bsrmmnt_small_blockdim_kernelILj64ELj32ELj2EiiaaffEEv20rocsparse_direction_T3_S2_llNS_24const_host_device_scalarIT7_EEPKT2_PKS2_PKT4_PKT5_llS5_PT6_ll16rocsparse_order_21rocsparse_index_base_b.num_vgpr, 28
	.set _ZN9rocsparseL29bsrmmnt_small_blockdim_kernelILj64ELj32ELj2EiiaaffEEv20rocsparse_direction_T3_S2_llNS_24const_host_device_scalarIT7_EEPKT2_PKS2_PKT4_PKT5_llS5_PT6_ll16rocsparse_order_21rocsparse_index_base_b.num_agpr, 0
	.set _ZN9rocsparseL29bsrmmnt_small_blockdim_kernelILj64ELj32ELj2EiiaaffEEv20rocsparse_direction_T3_S2_llNS_24const_host_device_scalarIT7_EEPKT2_PKS2_PKT4_PKT5_llS5_PT6_ll16rocsparse_order_21rocsparse_index_base_b.numbered_sgpr, 32
	.set _ZN9rocsparseL29bsrmmnt_small_blockdim_kernelILj64ELj32ELj2EiiaaffEEv20rocsparse_direction_T3_S2_llNS_24const_host_device_scalarIT7_EEPKT2_PKS2_PKT4_PKT5_llS5_PT6_ll16rocsparse_order_21rocsparse_index_base_b.num_named_barrier, 0
	.set _ZN9rocsparseL29bsrmmnt_small_blockdim_kernelILj64ELj32ELj2EiiaaffEEv20rocsparse_direction_T3_S2_llNS_24const_host_device_scalarIT7_EEPKT2_PKS2_PKT4_PKT5_llS5_PT6_ll16rocsparse_order_21rocsparse_index_base_b.private_seg_size, 0
	.set _ZN9rocsparseL29bsrmmnt_small_blockdim_kernelILj64ELj32ELj2EiiaaffEEv20rocsparse_direction_T3_S2_llNS_24const_host_device_scalarIT7_EEPKT2_PKS2_PKT4_PKT5_llS5_PT6_ll16rocsparse_order_21rocsparse_index_base_b.uses_vcc, 1
	.set _ZN9rocsparseL29bsrmmnt_small_blockdim_kernelILj64ELj32ELj2EiiaaffEEv20rocsparse_direction_T3_S2_llNS_24const_host_device_scalarIT7_EEPKT2_PKS2_PKT4_PKT5_llS5_PT6_ll16rocsparse_order_21rocsparse_index_base_b.uses_flat_scratch, 0
	.set _ZN9rocsparseL29bsrmmnt_small_blockdim_kernelILj64ELj32ELj2EiiaaffEEv20rocsparse_direction_T3_S2_llNS_24const_host_device_scalarIT7_EEPKT2_PKS2_PKT4_PKT5_llS5_PT6_ll16rocsparse_order_21rocsparse_index_base_b.has_dyn_sized_stack, 0
	.set _ZN9rocsparseL29bsrmmnt_small_blockdim_kernelILj64ELj32ELj2EiiaaffEEv20rocsparse_direction_T3_S2_llNS_24const_host_device_scalarIT7_EEPKT2_PKS2_PKT4_PKT5_llS5_PT6_ll16rocsparse_order_21rocsparse_index_base_b.has_recursion, 0
	.set _ZN9rocsparseL29bsrmmnt_small_blockdim_kernelILj64ELj32ELj2EiiaaffEEv20rocsparse_direction_T3_S2_llNS_24const_host_device_scalarIT7_EEPKT2_PKS2_PKT4_PKT5_llS5_PT6_ll16rocsparse_order_21rocsparse_index_base_b.has_indirect_call, 0
	.section	.AMDGPU.csdata,"",@progbits
; Kernel info:
; codeLenInByte = 1304
; TotalNumSgprs: 36
; NumVgprs: 28
; ScratchSize: 0
; MemoryBound: 0
; FloatMode: 240
; IeeeMode: 1
; LDSByteSize: 448 bytes/workgroup (compile time only)
; SGPRBlocks: 4
; VGPRBlocks: 6
; NumSGPRsForWavesPerEU: 36
; NumVGPRsForWavesPerEU: 28
; Occupancy: 9
; WaveLimiterHint : 0
; COMPUTE_PGM_RSRC2:SCRATCH_EN: 0
; COMPUTE_PGM_RSRC2:USER_SGPR: 6
; COMPUTE_PGM_RSRC2:TRAP_HANDLER: 0
; COMPUTE_PGM_RSRC2:TGID_X_EN: 1
; COMPUTE_PGM_RSRC2:TGID_Y_EN: 0
; COMPUTE_PGM_RSRC2:TGID_Z_EN: 0
; COMPUTE_PGM_RSRC2:TIDIG_COMP_CNT: 0
	.section	.text._ZN9rocsparseL29bsrmmnt_small_blockdim_kernelILj64ELj64ELj2EiiaaffEEv20rocsparse_direction_T3_S2_llNS_24const_host_device_scalarIT7_EEPKT2_PKS2_PKT4_PKT5_llS5_PT6_ll16rocsparse_order_21rocsparse_index_base_b,"axG",@progbits,_ZN9rocsparseL29bsrmmnt_small_blockdim_kernelILj64ELj64ELj2EiiaaffEEv20rocsparse_direction_T3_S2_llNS_24const_host_device_scalarIT7_EEPKT2_PKS2_PKT4_PKT5_llS5_PT6_ll16rocsparse_order_21rocsparse_index_base_b,comdat
	.globl	_ZN9rocsparseL29bsrmmnt_small_blockdim_kernelILj64ELj64ELj2EiiaaffEEv20rocsparse_direction_T3_S2_llNS_24const_host_device_scalarIT7_EEPKT2_PKS2_PKT4_PKT5_llS5_PT6_ll16rocsparse_order_21rocsparse_index_base_b ; -- Begin function _ZN9rocsparseL29bsrmmnt_small_blockdim_kernelILj64ELj64ELj2EiiaaffEEv20rocsparse_direction_T3_S2_llNS_24const_host_device_scalarIT7_EEPKT2_PKS2_PKT4_PKT5_llS5_PT6_ll16rocsparse_order_21rocsparse_index_base_b
	.p2align	8
	.type	_ZN9rocsparseL29bsrmmnt_small_blockdim_kernelILj64ELj64ELj2EiiaaffEEv20rocsparse_direction_T3_S2_llNS_24const_host_device_scalarIT7_EEPKT2_PKS2_PKT4_PKT5_llS5_PT6_ll16rocsparse_order_21rocsparse_index_base_b,@function
_ZN9rocsparseL29bsrmmnt_small_blockdim_kernelILj64ELj64ELj2EiiaaffEEv20rocsparse_direction_T3_S2_llNS_24const_host_device_scalarIT7_EEPKT2_PKS2_PKT4_PKT5_llS5_PT6_ll16rocsparse_order_21rocsparse_index_base_b: ; @_ZN9rocsparseL29bsrmmnt_small_blockdim_kernelILj64ELj64ELj2EiiaaffEEv20rocsparse_direction_T3_S2_llNS_24const_host_device_scalarIT7_EEPKT2_PKS2_PKT4_PKT5_llS5_PT6_ll16rocsparse_order_21rocsparse_index_base_b
; %bb.0:
	s_load_dwordx4 s[16:19], s[4:5], 0x78
	s_load_dwordx2 s[28:29], s[4:5], 0x20
	s_load_dwordx2 s[30:31], s[4:5], 0x58
	s_waitcnt lgkmcnt(0)
	s_bitcmp1_b32 s18, 0
	s_cselect_b64 s[2:3], -1, 0
	s_xor_b64 s[0:1], s[2:3], -1
	s_and_b64 vcc, exec, s[2:3]
	s_cbranch_vccnz .LBB96_2
; %bb.1:
	s_load_dword s28, s[28:29], 0x0
.LBB96_2:
	s_andn2_b64 vcc, exec, s[0:1]
	s_cbranch_vccnz .LBB96_4
; %bb.3:
	s_load_dword s30, s[30:31], 0x0
.LBB96_4:
	s_waitcnt lgkmcnt(0)
	v_cmp_eq_f32_e64 s[0:1], s28, 0
	v_cmp_eq_f32_e64 s[2:3], s30, 1.0
	s_and_b64 s[0:1], s[0:1], s[2:3]
	s_and_b64 vcc, exec, s[0:1]
	s_cbranch_vccnz .LBB96_30
; %bb.5:
	s_load_dword s0, s[4:5], 0x94
	s_load_dwordx4 s[20:23], s[4:5], 0x0
	s_waitcnt lgkmcnt(0)
	s_and_b32 s0, s0, 0xffff
	s_mul_i32 s6, s6, s0
	v_add_u32_e32 v1, s6, v0
	v_lshrrev_b32_e32 v2, 7, v1
	v_cmp_gt_i32_e32 vcc, s21, v2
	s_and_saveexec_b64 s[0:1], vcc
	s_cbranch_execz .LBB96_30
; %bb.6:
	s_cmp_lt_i32 s22, 1
	s_cbranch_scc1 .LBB96_30
; %bb.7:
	s_load_dwordx8 s[8:15], s[4:5], 0x28
	v_lshlrev_b32_e32 v2, 2, v2
	v_lshrrev_b32_e32 v6, 6, v1
	v_bfe_u32 v1, v1, 6, 1
	s_cmp_eq_u32 s20, 0
	s_waitcnt lgkmcnt(0)
	global_load_dwordx2 v[2:3], v2, s[8:9]
	s_load_dwordx4 s[24:27], s[4:5], 0x60
	s_load_dwordx2 s[6:7], s[4:5], 0x48
	v_lshlrev_b32_e32 v4, 1, v1
	s_cselect_b64 vcc, -1, 0
	v_or_b32_e32 v11, 1, v4
	v_cndmask_b32_e32 v8, v1, v4, vcc
	s_waitcnt lgkmcnt(0)
	v_mad_u64_u32 v[4:5], s[0:1], s26, v6, 0
	v_or_b32_e32 v9, 2, v1
	v_lshlrev_b32_e32 v10, 2, v6
	v_mov_b32_e32 v1, v5
	v_cndmask_b32_e32 v9, v9, v11, vcc
	v_mov_b32_e32 v11, s25
	v_add_co_u32_e32 v10, vcc, s24, v10
	v_addc_co_u32_e32 v11, vcc, 0, v11, vcc
	v_mul_u32_u24_e32 v16, 3, v0
	s_cmp_lg_u32 s16, 1
	v_mov_b32_e32 v13, s25
	s_mov_b32 s23, 0
	v_lshlrev_b32_e32 v7, 2, v0
	v_cmp_neq_f32_e64 s[4:5], s30, 0
	s_cselect_b64 s[8:9], -1, 0
	v_add_u32_e32 v16, 0x100, v16
	s_waitcnt vmcnt(0)
	v_mad_u64_u32 v[5:6], s[0:1], s27, v6, v[1:2]
	v_subrev_u32_e32 v14, s17, v2
	v_subrev_u32_e32 v15, s17, v3
	v_lshlrev_b64 v[4:5], 2, v[4:5]
	v_cmp_lt_i32_e64 s[0:1], v2, v3
	v_add_co_u32_e32 v12, vcc, s24, v4
	v_addc_co_u32_e32 v13, vcc, v13, v5, vcc
	s_branch .LBB96_9
.LBB96_8:                               ;   in Loop: Header=BB96_9 Depth=1
	s_or_b64 exec, exec, s[2:3]
	s_add_i32 s23, s23, 64
	s_cmp_lt_i32 s23, s22
	s_cbranch_scc0 .LBB96_30
.LBB96_9:                               ; =>This Loop Header: Depth=1
                                        ;     Child Loop BB96_12 Depth 2
                                        ;       Child Loop BB96_16 Depth 3
	v_or_b32_e32 v1, s23, v0
	v_ashrrev_i32_e32 v2, 31, v1
	v_mov_b32_e32 v17, 0
	s_and_saveexec_b64 s[18:19], s[0:1]
	s_cbranch_execz .LBB96_18
; %bb.10:                               ;   in Loop: Header=BB96_9 Depth=1
	v_mov_b32_e32 v4, s15
	v_add_co_u32_e64 v3, s[2:3], s14, v1
	v_cmp_gt_i32_e32 vcc, s22, v1
	v_addc_co_u32_e64 v4, s[2:3], v4, v2, s[2:3]
	v_mov_b32_e32 v17, 0
	s_mov_b64 s[20:21], 0
	v_mov_b32_e32 v18, v14
	s_branch .LBB96_12
.LBB96_11:                              ;   in Loop: Header=BB96_12 Depth=2
	s_or_b64 exec, exec, s[2:3]
	v_add_u32_e32 v18, 64, v18
	v_cmp_ge_i32_e64 s[2:3], v18, v15
	s_or_b64 s[20:21], s[2:3], s[20:21]
	s_andn2_b64 exec, exec, s[20:21]
	s_cbranch_execz .LBB96_17
.LBB96_12:                              ;   Parent Loop BB96_9 Depth=1
                                        ; =>  This Loop Header: Depth=2
                                        ;       Child Loop BB96_16 Depth 3
	v_add_u32_e32 v5, v18, v0
	v_cmp_lt_i32_e64 s[2:3], v5, v15
	v_mov_b32_e32 v20, 0
	v_mov_b32_e32 v6, 0
	;; [unrolled: 1-line block ×3, first 2 shown]
	s_and_saveexec_b64 s[24:25], s[2:3]
	s_cbranch_execz .LBB96_14
; %bb.13:                               ;   in Loop: Header=BB96_12 Depth=2
	v_ashrrev_i32_e32 v6, 31, v5
	v_lshlrev_b64 v[19:20], 2, v[5:6]
	v_mov_b32_e32 v6, s11
	v_add_co_u32_e64 v19, s[2:3], s10, v19
	v_addc_co_u32_e64 v20, s[2:3], v6, v20, s[2:3]
	global_load_dword v20, v[19:20], off
	v_lshlrev_b32_e32 v5, 2, v5
	v_or_b32_e32 v21, v5, v8
	v_or_b32_e32 v5, v5, v9
	global_load_ubyte v6, v21, s[12:13]
	global_load_ubyte v19, v5, s[12:13]
	s_waitcnt vmcnt(2)
	v_subrev_u32_e32 v5, s17, v20
	v_lshlrev_b32_e32 v20, 1, v5
.LBB96_14:                              ;   in Loop: Header=BB96_12 Depth=2
	s_or_b64 exec, exec, s[24:25]
	ds_write_b32 v7, v20
	s_waitcnt vmcnt(1)
	ds_write_b8 v16, v6
	s_waitcnt vmcnt(0)
	ds_write_b8 v16, v19 offset:1
	s_waitcnt lgkmcnt(0)
	; wave barrier
	s_and_saveexec_b64 s[2:3], vcc
	s_cbranch_execz .LBB96_11
; %bb.15:                               ;   in Loop: Header=BB96_12 Depth=2
	s_mov_b32 s16, 0
	v_mov_b32_e32 v5, 0x100
.LBB96_16:                              ;   Parent Loop BB96_9 Depth=1
                                        ;     Parent Loop BB96_12 Depth=2
                                        ; =>    This Inner Loop Header: Depth=3
	v_mov_b32_e32 v6, s16
	ds_read_b64 v[19:20], v6
	s_add_i32 s16, s16, 8
	s_waitcnt lgkmcnt(0)
	v_readfirstlane_b32 s29, v19
	s_ashr_i32 s24, s29, 31
	s_mul_i32 s25, s7, s29
	s_mul_i32 s24, s6, s24
	v_mov_b32_e32 v6, s29
	v_readfirstlane_b32 s31, v20
	s_add_i32 s33, s24, s25
	v_mad_u64_u32 v[19:20], s[24:25], s6, v6, v[3:4]
	s_add_i32 s24, s29, 1
	s_ashr_i32 s25, s24, 31
	v_add_u32_e32 v20, s33, v20
	global_load_sbyte v6, v[19:20], off
	ds_read_u16 v19, v5
	ds_read_i8 v21, v5 offset:3
	ds_read_i8 v22, v5 offset:4
	s_mul_i32 s25, s6, s25
	s_mul_i32 s29, s7, s24
	s_waitcnt lgkmcnt(2)
	v_bfe_i32 v20, v19, 0, 8
	v_ashrrev_i16_e32 v23, 8, v19
	v_cvt_f32_i32_sdwa v19, sext(v20) dst_sel:DWORD dst_unused:UNUSED_PAD src0_sel:WORD_0
	s_add_i32 s29, s25, s29
	v_add_u32_e32 v5, 6, v5
	s_waitcnt vmcnt(0)
	v_cvt_f32_i32_e32 v6, v6
	v_fmac_f32_e32 v17, v19, v6
	v_mov_b32_e32 v6, s24
	v_mad_u64_u32 v[19:20], s[24:25], s6, v6, v[3:4]
	s_ashr_i32 s24, s31, 31
	s_mul_i32 s25, s7, s31
	v_add_u32_e32 v20, s29, v20
	global_load_sbyte v6, v[19:20], off
	v_cvt_f32_i32_sdwa v19, sext(v23) dst_sel:DWORD dst_unused:UNUSED_PAD src0_sel:WORD_0
	s_mul_i32 s24, s6, s24
	s_add_i32 s29, s24, s25
	s_waitcnt vmcnt(0)
	v_cvt_f32_i32_e32 v6, v6
	v_fmac_f32_e32 v17, v19, v6
	v_mov_b32_e32 v6, s31
	v_mad_u64_u32 v[19:20], s[24:25], s6, v6, v[3:4]
	s_add_i32 s24, s31, 1
	s_ashr_i32 s25, s24, 31
	v_add_u32_e32 v20, s29, v20
	global_load_sbyte v6, v[19:20], off
	s_waitcnt lgkmcnt(1)
	v_cvt_f32_i32_e32 v19, v21
	s_mul_i32 s25, s6, s25
	s_mul_i32 s29, s7, s24
	s_add_i32 s29, s25, s29
	s_cmpk_lg_i32 s16, 0x100
	s_waitcnt vmcnt(0)
	v_cvt_f32_i32_e32 v6, v6
	v_fmac_f32_e32 v17, v19, v6
	v_mov_b32_e32 v6, s24
	v_mad_u64_u32 v[19:20], s[24:25], s6, v6, v[3:4]
	v_add_u32_e32 v20, s29, v20
	global_load_sbyte v6, v[19:20], off
	s_waitcnt lgkmcnt(0)
	v_cvt_f32_i32_e32 v19, v22
	s_waitcnt vmcnt(0)
	v_cvt_f32_i32_e32 v6, v6
	v_fmac_f32_e32 v17, v19, v6
	s_cbranch_scc1 .LBB96_16
	s_branch .LBB96_11
.LBB96_17:                              ;   in Loop: Header=BB96_9 Depth=1
	s_or_b64 exec, exec, s[20:21]
.LBB96_18:                              ;   in Loop: Header=BB96_9 Depth=1
	s_or_b64 exec, exec, s[18:19]
	v_cmp_gt_i32_e32 vcc, s22, v1
	s_and_saveexec_b64 s[2:3], vcc
	s_cbranch_execz .LBB96_8
; %bb.19:                               ;   in Loop: Header=BB96_9 Depth=1
	s_mov_b64 s[18:19], -1
	s_and_b64 vcc, exec, s[4:5]
	s_cbranch_vccz .LBB96_25
; %bb.20:                               ;   in Loop: Header=BB96_9 Depth=1
	s_and_b64 vcc, exec, s[8:9]
	s_cbranch_vccz .LBB96_22
; %bb.21:                               ;   in Loop: Header=BB96_9 Depth=1
	v_lshlrev_b64 v[3:4], 2, v[1:2]
	v_mul_f32_e32 v6, s28, v17
	v_add_co_u32_e32 v3, vcc, v12, v3
	v_addc_co_u32_e32 v4, vcc, v13, v4, vcc
	global_load_dword v5, v[3:4], off
	s_mov_b64 s[18:19], 0
	s_waitcnt vmcnt(0)
	v_fmac_f32_e32 v6, s30, v5
	global_store_dword v[3:4], v6, off
.LBB96_22:                              ;   in Loop: Header=BB96_9 Depth=1
	s_andn2_b64 vcc, exec, s[18:19]
	s_cbranch_vccnz .LBB96_24
; %bb.23:                               ;   in Loop: Header=BB96_9 Depth=1
	v_mul_lo_u32 v5, s27, v1
	v_mul_lo_u32 v6, s26, v2
	v_mad_u64_u32 v[3:4], s[18:19], s26, v1, 0
	v_add3_u32 v4, v4, v6, v5
	v_lshlrev_b64 v[3:4], 2, v[3:4]
	v_mul_f32_e32 v6, s28, v17
	v_add_co_u32_e32 v3, vcc, v10, v3
	v_addc_co_u32_e32 v4, vcc, v11, v4, vcc
	global_load_dword v5, v[3:4], off
	s_waitcnt vmcnt(0)
	v_fmac_f32_e32 v6, s30, v5
	global_store_dword v[3:4], v6, off
.LBB96_24:                              ;   in Loop: Header=BB96_9 Depth=1
	s_mov_b64 s[18:19], 0
.LBB96_25:                              ;   in Loop: Header=BB96_9 Depth=1
	s_andn2_b64 vcc, exec, s[18:19]
	s_cbranch_vccnz .LBB96_8
; %bb.26:                               ;   in Loop: Header=BB96_9 Depth=1
	v_mul_f32_e32 v3, s28, v17
	s_mov_b64 s[18:19], -1
	s_and_b64 vcc, exec, s[8:9]
	s_cbranch_vccz .LBB96_28
; %bb.27:                               ;   in Loop: Header=BB96_9 Depth=1
	v_lshlrev_b64 v[4:5], 2, v[1:2]
	s_mov_b64 s[18:19], 0
	v_add_co_u32_e32 v4, vcc, v12, v4
	v_addc_co_u32_e32 v5, vcc, v13, v5, vcc
	global_store_dword v[4:5], v3, off
.LBB96_28:                              ;   in Loop: Header=BB96_9 Depth=1
	s_andn2_b64 vcc, exec, s[18:19]
	s_cbranch_vccnz .LBB96_8
; %bb.29:                               ;   in Loop: Header=BB96_9 Depth=1
	v_mul_lo_u32 v4, s27, v1
	v_mul_lo_u32 v5, s26, v2
	v_mad_u64_u32 v[1:2], s[18:19], s26, v1, 0
	v_add3_u32 v2, v2, v5, v4
	v_lshlrev_b64 v[1:2], 2, v[1:2]
	v_add_co_u32_e32 v1, vcc, v10, v1
	v_addc_co_u32_e32 v2, vcc, v11, v2, vcc
	global_store_dword v[1:2], v3, off
	s_branch .LBB96_8
.LBB96_30:
	s_endpgm
	.section	.rodata,"a",@progbits
	.p2align	6, 0x0
	.amdhsa_kernel _ZN9rocsparseL29bsrmmnt_small_blockdim_kernelILj64ELj64ELj2EiiaaffEEv20rocsparse_direction_T3_S2_llNS_24const_host_device_scalarIT7_EEPKT2_PKS2_PKT4_PKT5_llS5_PT6_ll16rocsparse_order_21rocsparse_index_base_b
		.amdhsa_group_segment_fixed_size 448
		.amdhsa_private_segment_fixed_size 0
		.amdhsa_kernarg_size 392
		.amdhsa_user_sgpr_count 6
		.amdhsa_user_sgpr_private_segment_buffer 1
		.amdhsa_user_sgpr_dispatch_ptr 0
		.amdhsa_user_sgpr_queue_ptr 0
		.amdhsa_user_sgpr_kernarg_segment_ptr 1
		.amdhsa_user_sgpr_dispatch_id 0
		.amdhsa_user_sgpr_flat_scratch_init 0
		.amdhsa_user_sgpr_private_segment_size 0
		.amdhsa_uses_dynamic_stack 0
		.amdhsa_system_sgpr_private_segment_wavefront_offset 0
		.amdhsa_system_sgpr_workgroup_id_x 1
		.amdhsa_system_sgpr_workgroup_id_y 0
		.amdhsa_system_sgpr_workgroup_id_z 0
		.amdhsa_system_sgpr_workgroup_info 0
		.amdhsa_system_vgpr_workitem_id 0
		.amdhsa_next_free_vgpr 24
		.amdhsa_next_free_sgpr 34
		.amdhsa_reserve_vcc 1
		.amdhsa_reserve_flat_scratch 0
		.amdhsa_float_round_mode_32 0
		.amdhsa_float_round_mode_16_64 0
		.amdhsa_float_denorm_mode_32 3
		.amdhsa_float_denorm_mode_16_64 3
		.amdhsa_dx10_clamp 1
		.amdhsa_ieee_mode 1
		.amdhsa_fp16_overflow 0
		.amdhsa_exception_fp_ieee_invalid_op 0
		.amdhsa_exception_fp_denorm_src 0
		.amdhsa_exception_fp_ieee_div_zero 0
		.amdhsa_exception_fp_ieee_overflow 0
		.amdhsa_exception_fp_ieee_underflow 0
		.amdhsa_exception_fp_ieee_inexact 0
		.amdhsa_exception_int_div_zero 0
	.end_amdhsa_kernel
	.section	.text._ZN9rocsparseL29bsrmmnt_small_blockdim_kernelILj64ELj64ELj2EiiaaffEEv20rocsparse_direction_T3_S2_llNS_24const_host_device_scalarIT7_EEPKT2_PKS2_PKT4_PKT5_llS5_PT6_ll16rocsparse_order_21rocsparse_index_base_b,"axG",@progbits,_ZN9rocsparseL29bsrmmnt_small_blockdim_kernelILj64ELj64ELj2EiiaaffEEv20rocsparse_direction_T3_S2_llNS_24const_host_device_scalarIT7_EEPKT2_PKS2_PKT4_PKT5_llS5_PT6_ll16rocsparse_order_21rocsparse_index_base_b,comdat
.Lfunc_end96:
	.size	_ZN9rocsparseL29bsrmmnt_small_blockdim_kernelILj64ELj64ELj2EiiaaffEEv20rocsparse_direction_T3_S2_llNS_24const_host_device_scalarIT7_EEPKT2_PKS2_PKT4_PKT5_llS5_PT6_ll16rocsparse_order_21rocsparse_index_base_b, .Lfunc_end96-_ZN9rocsparseL29bsrmmnt_small_blockdim_kernelILj64ELj64ELj2EiiaaffEEv20rocsparse_direction_T3_S2_llNS_24const_host_device_scalarIT7_EEPKT2_PKS2_PKT4_PKT5_llS5_PT6_ll16rocsparse_order_21rocsparse_index_base_b
                                        ; -- End function
	.set _ZN9rocsparseL29bsrmmnt_small_blockdim_kernelILj64ELj64ELj2EiiaaffEEv20rocsparse_direction_T3_S2_llNS_24const_host_device_scalarIT7_EEPKT2_PKS2_PKT4_PKT5_llS5_PT6_ll16rocsparse_order_21rocsparse_index_base_b.num_vgpr, 24
	.set _ZN9rocsparseL29bsrmmnt_small_blockdim_kernelILj64ELj64ELj2EiiaaffEEv20rocsparse_direction_T3_S2_llNS_24const_host_device_scalarIT7_EEPKT2_PKS2_PKT4_PKT5_llS5_PT6_ll16rocsparse_order_21rocsparse_index_base_b.num_agpr, 0
	.set _ZN9rocsparseL29bsrmmnt_small_blockdim_kernelILj64ELj64ELj2EiiaaffEEv20rocsparse_direction_T3_S2_llNS_24const_host_device_scalarIT7_EEPKT2_PKS2_PKT4_PKT5_llS5_PT6_ll16rocsparse_order_21rocsparse_index_base_b.numbered_sgpr, 34
	.set _ZN9rocsparseL29bsrmmnt_small_blockdim_kernelILj64ELj64ELj2EiiaaffEEv20rocsparse_direction_T3_S2_llNS_24const_host_device_scalarIT7_EEPKT2_PKS2_PKT4_PKT5_llS5_PT6_ll16rocsparse_order_21rocsparse_index_base_b.num_named_barrier, 0
	.set _ZN9rocsparseL29bsrmmnt_small_blockdim_kernelILj64ELj64ELj2EiiaaffEEv20rocsparse_direction_T3_S2_llNS_24const_host_device_scalarIT7_EEPKT2_PKS2_PKT4_PKT5_llS5_PT6_ll16rocsparse_order_21rocsparse_index_base_b.private_seg_size, 0
	.set _ZN9rocsparseL29bsrmmnt_small_blockdim_kernelILj64ELj64ELj2EiiaaffEEv20rocsparse_direction_T3_S2_llNS_24const_host_device_scalarIT7_EEPKT2_PKS2_PKT4_PKT5_llS5_PT6_ll16rocsparse_order_21rocsparse_index_base_b.uses_vcc, 1
	.set _ZN9rocsparseL29bsrmmnt_small_blockdim_kernelILj64ELj64ELj2EiiaaffEEv20rocsparse_direction_T3_S2_llNS_24const_host_device_scalarIT7_EEPKT2_PKS2_PKT4_PKT5_llS5_PT6_ll16rocsparse_order_21rocsparse_index_base_b.uses_flat_scratch, 0
	.set _ZN9rocsparseL29bsrmmnt_small_blockdim_kernelILj64ELj64ELj2EiiaaffEEv20rocsparse_direction_T3_S2_llNS_24const_host_device_scalarIT7_EEPKT2_PKS2_PKT4_PKT5_llS5_PT6_ll16rocsparse_order_21rocsparse_index_base_b.has_dyn_sized_stack, 0
	.set _ZN9rocsparseL29bsrmmnt_small_blockdim_kernelILj64ELj64ELj2EiiaaffEEv20rocsparse_direction_T3_S2_llNS_24const_host_device_scalarIT7_EEPKT2_PKS2_PKT4_PKT5_llS5_PT6_ll16rocsparse_order_21rocsparse_index_base_b.has_recursion, 0
	.set _ZN9rocsparseL29bsrmmnt_small_blockdim_kernelILj64ELj64ELj2EiiaaffEEv20rocsparse_direction_T3_S2_llNS_24const_host_device_scalarIT7_EEPKT2_PKS2_PKT4_PKT5_llS5_PT6_ll16rocsparse_order_21rocsparse_index_base_b.has_indirect_call, 0
	.section	.AMDGPU.csdata,"",@progbits
; Kernel info:
; codeLenInByte = 1272
; TotalNumSgprs: 38
; NumVgprs: 24
; ScratchSize: 0
; MemoryBound: 0
; FloatMode: 240
; IeeeMode: 1
; LDSByteSize: 448 bytes/workgroup (compile time only)
; SGPRBlocks: 4
; VGPRBlocks: 5
; NumSGPRsForWavesPerEU: 38
; NumVGPRsForWavesPerEU: 24
; Occupancy: 10
; WaveLimiterHint : 0
; COMPUTE_PGM_RSRC2:SCRATCH_EN: 0
; COMPUTE_PGM_RSRC2:USER_SGPR: 6
; COMPUTE_PGM_RSRC2:TRAP_HANDLER: 0
; COMPUTE_PGM_RSRC2:TGID_X_EN: 1
; COMPUTE_PGM_RSRC2:TGID_Y_EN: 0
; COMPUTE_PGM_RSRC2:TGID_Z_EN: 0
; COMPUTE_PGM_RSRC2:TIDIG_COMP_CNT: 0
	.section	.text._ZN9rocsparseL29bsrmmnt_small_blockdim_kernelILj64ELj8ELj2EliaaffEEv20rocsparse_direction_T3_S2_llNS_24const_host_device_scalarIT7_EEPKT2_PKS2_PKT4_PKT5_llS5_PT6_ll16rocsparse_order_21rocsparse_index_base_b,"axG",@progbits,_ZN9rocsparseL29bsrmmnt_small_blockdim_kernelILj64ELj8ELj2EliaaffEEv20rocsparse_direction_T3_S2_llNS_24const_host_device_scalarIT7_EEPKT2_PKS2_PKT4_PKT5_llS5_PT6_ll16rocsparse_order_21rocsparse_index_base_b,comdat
	.globl	_ZN9rocsparseL29bsrmmnt_small_blockdim_kernelILj64ELj8ELj2EliaaffEEv20rocsparse_direction_T3_S2_llNS_24const_host_device_scalarIT7_EEPKT2_PKS2_PKT4_PKT5_llS5_PT6_ll16rocsparse_order_21rocsparse_index_base_b ; -- Begin function _ZN9rocsparseL29bsrmmnt_small_blockdim_kernelILj64ELj8ELj2EliaaffEEv20rocsparse_direction_T3_S2_llNS_24const_host_device_scalarIT7_EEPKT2_PKS2_PKT4_PKT5_llS5_PT6_ll16rocsparse_order_21rocsparse_index_base_b
	.p2align	8
	.type	_ZN9rocsparseL29bsrmmnt_small_blockdim_kernelILj64ELj8ELj2EliaaffEEv20rocsparse_direction_T3_S2_llNS_24const_host_device_scalarIT7_EEPKT2_PKS2_PKT4_PKT5_llS5_PT6_ll16rocsparse_order_21rocsparse_index_base_b,@function
_ZN9rocsparseL29bsrmmnt_small_blockdim_kernelILj64ELj8ELj2EliaaffEEv20rocsparse_direction_T3_S2_llNS_24const_host_device_scalarIT7_EEPKT2_PKS2_PKT4_PKT5_llS5_PT6_ll16rocsparse_order_21rocsparse_index_base_b: ; @_ZN9rocsparseL29bsrmmnt_small_blockdim_kernelILj64ELj8ELj2EliaaffEEv20rocsparse_direction_T3_S2_llNS_24const_host_device_scalarIT7_EEPKT2_PKS2_PKT4_PKT5_llS5_PT6_ll16rocsparse_order_21rocsparse_index_base_b
; %bb.0:
	s_load_dwordx4 s[16:19], s[4:5], 0x78
	s_load_dwordx2 s[28:29], s[4:5], 0x20
	s_load_dwordx2 s[30:31], s[4:5], 0x58
	s_waitcnt lgkmcnt(0)
	s_bitcmp1_b32 s18, 0
	s_cselect_b64 s[2:3], -1, 0
	s_xor_b64 s[0:1], s[2:3], -1
	s_and_b64 vcc, exec, s[2:3]
	s_cbranch_vccnz .LBB97_2
; %bb.1:
	s_load_dword s28, s[28:29], 0x0
.LBB97_2:
	s_andn2_b64 vcc, exec, s[0:1]
	s_cbranch_vccnz .LBB97_4
; %bb.3:
	s_load_dword s30, s[30:31], 0x0
.LBB97_4:
	s_waitcnt lgkmcnt(0)
	v_cmp_eq_f32_e64 s[0:1], s28, 0
	v_cmp_eq_f32_e64 s[2:3], s30, 1.0
	s_and_b64 s[0:1], s[0:1], s[2:3]
	s_and_b64 vcc, exec, s[0:1]
	s_cbranch_vccnz .LBB97_30
; %bb.5:
	s_load_dword s0, s[4:5], 0x94
	s_load_dwordx4 s[20:23], s[4:5], 0x0
	s_waitcnt lgkmcnt(0)
	s_and_b32 s0, s0, 0xffff
	s_mul_i32 s6, s6, s0
	v_add_u32_e32 v1, s6, v0
	v_lshrrev_b32_e32 v2, 4, v1
	v_cmp_gt_i32_e32 vcc, s21, v2
	s_and_saveexec_b64 s[0:1], vcc
	s_cbranch_execz .LBB97_30
; %bb.6:
	s_cmp_lt_i32 s22, 1
	s_cbranch_scc1 .LBB97_30
; %bb.7:
	s_load_dwordx8 s[8:15], s[4:5], 0x28
	v_lshlrev_b32_e32 v2, 3, v2
	s_cmp_lg_u32 s16, 1
	v_and_b32_e32 v12, 7, v0
	v_lshrrev_b32_e32 v0, 3, v0
	s_waitcnt lgkmcnt(0)
	global_load_dwordx4 v[4:7], v2, s[8:9]
	s_load_dwordx4 s[24:27], s[4:5], 0x60
	s_load_dwordx2 s[6:7], s[4:5], 0x48
	s_cselect_b64 s[8:9], -1, 0
	s_cmp_eq_u32 s20, 0
	v_lshlrev_b32_e32 v13, 5, v0
	v_mul_u32_u24_e32 v0, 24, v0
	s_cselect_b64 s[0:1], -1, 0
	v_lshrrev_b32_e32 v2, 3, v1
	v_bfe_u32 v1, v1, 3, 1
	v_or_b32_e32 v15, 0x100, v0
	v_cndmask_b32_e64 v0, 0, 1, s[0:1]
	v_lshlrev_b32_e32 v9, v0, v1
	s_and_b64 s[0:1], s[0:1], exec
	s_waitcnt lgkmcnt(0)
	v_mad_u64_u32 v[0:1], s[0:1], s26, v2, 0
	v_lshlrev_b32_e32 v3, 2, v2
	v_mov_b32_e32 v11, s25
	v_mad_u64_u32 v[1:2], s[0:1], s27, v2, v[1:2]
	v_add_co_u32_e32 v16, vcc, s24, v3
	v_addc_co_u32_e32 v17, vcc, 0, v11, vcc
	v_mov_b32_e32 v19, s13
	v_add_co_u32_e32 v18, vcc, s12, v9
	v_lshlrev_b64 v[0:1], 2, v[0:1]
	v_addc_co_u32_e32 v19, vcc, 0, v19, vcc
	v_mov_b32_e32 v10, s25
	v_add_co_u32_e32 v20, vcc, s24, v0
	v_addc_co_u32_e32 v21, vcc, v10, v1, vcc
	v_mul_u32_u24_e32 v8, 3, v12
	s_mov_b32 s23, 0
	v_cmp_neq_f32_e64 s[4:5], s30, 0
	v_lshl_or_b32 v14, v12, 2, v13
	s_cselect_b32 s16, 1, 2
	v_add_u32_e32 v22, v15, v8
	s_waitcnt vmcnt(0)
	v_subrev_co_u32_e32 v0, vcc, s17, v4
	v_subbrev_co_u32_e32 v1, vcc, 0, v5, vcc
	v_subrev_co_u32_e32 v2, vcc, s17, v6
	v_cmp_lt_i64_e64 s[0:1], v[4:5], v[6:7]
	v_subbrev_co_u32_e32 v3, vcc, 0, v7, vcc
	s_branch .LBB97_9
.LBB97_8:                               ;   in Loop: Header=BB97_9 Depth=1
	s_or_b64 exec, exec, s[2:3]
	s_add_i32 s23, s23, 8
	s_cmp_lt_i32 s23, s22
	s_cbranch_scc0 .LBB97_30
.LBB97_9:                               ; =>This Loop Header: Depth=1
                                        ;     Child Loop BB97_12 Depth 2
                                        ;       Child Loop BB97_16 Depth 3
	v_or_b32_e32 v4, s23, v12
	v_ashrrev_i32_e32 v5, 31, v4
	v_mov_b32_e32 v23, 0
	s_and_saveexec_b64 s[12:13], s[0:1]
	s_cbranch_execz .LBB97_18
; %bb.10:                               ;   in Loop: Header=BB97_9 Depth=1
	v_mov_b32_e32 v7, s15
	v_add_co_u32_e64 v6, s[2:3], s14, v4
	v_mov_b32_e32 v9, v1
	v_cmp_gt_i32_e32 vcc, s22, v4
	v_addc_co_u32_e64 v7, s[2:3], v7, v5, s[2:3]
	v_mov_b32_e32 v23, 0
	s_mov_b64 s[18:19], 0
	v_mov_b32_e32 v8, v0
	s_branch .LBB97_12
.LBB97_11:                              ;   in Loop: Header=BB97_12 Depth=2
	s_or_b64 exec, exec, s[2:3]
	v_add_co_u32_e64 v8, s[2:3], 8, v8
	v_addc_co_u32_e64 v9, s[2:3], 0, v9, s[2:3]
	v_cmp_ge_i64_e64 s[2:3], v[8:9], v[2:3]
	s_or_b64 s[18:19], s[2:3], s[18:19]
	s_andn2_b64 exec, exec, s[18:19]
	s_cbranch_execz .LBB97_17
.LBB97_12:                              ;   Parent Loop BB97_9 Depth=1
                                        ; =>  This Loop Header: Depth=2
                                        ;       Child Loop BB97_16 Depth 3
	v_add_co_u32_e64 v10, s[2:3], v8, v12
	v_addc_co_u32_e64 v11, s[2:3], 0, v9, s[2:3]
	v_cmp_lt_i64_e64 s[2:3], v[10:11], v[2:3]
	v_mov_b32_e32 v26, 0
	v_mov_b32_e32 v24, 0
	;; [unrolled: 1-line block ×3, first 2 shown]
	s_and_saveexec_b64 s[20:21], s[2:3]
	s_cbranch_execz .LBB97_14
; %bb.13:                               ;   in Loop: Header=BB97_12 Depth=2
	v_lshlrev_b64 v[10:11], 2, v[10:11]
	v_mov_b32_e32 v25, s11
	v_add_co_u32_e64 v24, s[2:3], s10, v10
	v_addc_co_u32_e64 v25, s[2:3], v25, v11, s[2:3]
	v_add_co_u32_e64 v10, s[2:3], v18, v10
	global_load_dword v28, v[24:25], off
	v_addc_co_u32_e64 v11, s[2:3], v19, v11, s[2:3]
	v_add_co_u32_e64 v26, s[2:3], s16, v10
	v_addc_co_u32_e64 v27, s[2:3], 0, v11, s[2:3]
	global_load_ubyte v24, v[10:11], off
	global_load_ubyte v25, v[26:27], off
	s_waitcnt vmcnt(2)
	v_subrev_u32_e32 v10, s17, v28
	v_lshlrev_b32_e32 v26, 1, v10
.LBB97_14:                              ;   in Loop: Header=BB97_12 Depth=2
	s_or_b64 exec, exec, s[20:21]
	ds_write_b32 v14, v26
	s_waitcnt vmcnt(1)
	ds_write_b8 v22, v24
	s_waitcnt vmcnt(0)
	ds_write_b8 v22, v25 offset:1
	s_waitcnt lgkmcnt(0)
	; wave barrier
	s_and_saveexec_b64 s[2:3], vcc
	s_cbranch_execz .LBB97_11
; %bb.15:                               ;   in Loop: Header=BB97_12 Depth=2
	s_mov_b32 s20, 0
	v_mov_b32_e32 v10, v15
.LBB97_16:                              ;   Parent Loop BB97_9 Depth=1
                                        ;     Parent Loop BB97_12 Depth=2
                                        ; =>    This Inner Loop Header: Depth=3
	v_add_u32_e32 v11, s20, v13
	ds_read_b64 v[24:25], v11
	s_add_i32 s20, s20, 8
	s_cmp_lg_u32 s20, 32
	s_waitcnt lgkmcnt(0)
	v_ashrrev_i32_e32 v11, 31, v24
	v_mul_lo_u32 v11, s6, v11
	v_mul_lo_u32 v28, s7, v24
	v_mad_u64_u32 v[26:27], s[24:25], s6, v24, v[6:7]
	v_add3_u32 v27, v28, v27, v11
	global_load_sbyte v11, v[26:27], off
	ds_read_u16 v26, v10
	ds_read_i8 v28, v10 offset:3
	ds_read_i8 v29, v10 offset:4
	v_add_u32_e32 v10, 6, v10
	s_waitcnt lgkmcnt(2)
	v_bfe_i32 v27, v26, 0, 8
	v_ashrrev_i16_e32 v30, 8, v26
	v_cvt_f32_i32_sdwa v26, sext(v27) dst_sel:DWORD dst_unused:UNUSED_PAD src0_sel:WORD_0
	s_waitcnt vmcnt(0)
	v_cvt_f32_i32_e32 v11, v11
	v_fmac_f32_e32 v23, v26, v11
	v_add_u32_e32 v11, 1, v24
	v_ashrrev_i32_e32 v24, 31, v11
	v_mul_lo_u32 v24, s6, v24
	v_mul_lo_u32 v31, s7, v11
	v_mad_u64_u32 v[26:27], s[24:25], s6, v11, v[6:7]
	v_add3_u32 v27, v31, v27, v24
	global_load_sbyte v11, v[26:27], off
	v_cvt_f32_i32_sdwa v24, sext(v30) dst_sel:DWORD dst_unused:UNUSED_PAD src0_sel:WORD_0
	v_mad_u64_u32 v[26:27], s[24:25], s6, v25, v[6:7]
	s_waitcnt vmcnt(0)
	v_cvt_f32_i32_e32 v11, v11
	v_fmac_f32_e32 v23, v24, v11
	v_ashrrev_i32_e32 v11, 31, v25
	v_mul_lo_u32 v11, s6, v11
	v_mul_lo_u32 v24, s7, v25
	v_add3_u32 v27, v24, v27, v11
	global_load_sbyte v11, v[26:27], off
	s_waitcnt lgkmcnt(1)
	v_cvt_f32_i32_e32 v24, v28
	s_waitcnt vmcnt(0)
	v_cvt_f32_i32_e32 v11, v11
	v_fmac_f32_e32 v23, v24, v11
	v_add_u32_e32 v11, 1, v25
	v_ashrrev_i32_e32 v24, 31, v11
	v_mul_lo_u32 v26, s6, v24
	v_mul_lo_u32 v27, s7, v11
	v_mad_u64_u32 v[24:25], s[24:25], s6, v11, v[6:7]
	v_add3_u32 v25, v27, v25, v26
	global_load_sbyte v11, v[24:25], off
	s_waitcnt lgkmcnt(0)
	v_cvt_f32_i32_e32 v24, v29
	s_waitcnt vmcnt(0)
	v_cvt_f32_i32_e32 v11, v11
	v_fmac_f32_e32 v23, v24, v11
	s_cbranch_scc1 .LBB97_16
	s_branch .LBB97_11
.LBB97_17:                              ;   in Loop: Header=BB97_9 Depth=1
	s_or_b64 exec, exec, s[18:19]
.LBB97_18:                              ;   in Loop: Header=BB97_9 Depth=1
	s_or_b64 exec, exec, s[12:13]
	v_cmp_gt_i32_e32 vcc, s22, v4
	s_and_saveexec_b64 s[2:3], vcc
	s_cbranch_execz .LBB97_8
; %bb.19:                               ;   in Loop: Header=BB97_9 Depth=1
	s_mov_b64 s[12:13], -1
	s_and_b64 vcc, exec, s[4:5]
	s_cbranch_vccz .LBB97_25
; %bb.20:                               ;   in Loop: Header=BB97_9 Depth=1
	s_and_b64 vcc, exec, s[8:9]
	s_cbranch_vccz .LBB97_22
; %bb.21:                               ;   in Loop: Header=BB97_9 Depth=1
	v_lshlrev_b64 v[6:7], 2, v[4:5]
	v_mul_f32_e32 v9, s28, v23
	v_add_co_u32_e32 v6, vcc, v20, v6
	v_addc_co_u32_e32 v7, vcc, v21, v7, vcc
	global_load_dword v8, v[6:7], off
	s_mov_b64 s[12:13], 0
	s_waitcnt vmcnt(0)
	v_fmac_f32_e32 v9, s30, v8
	global_store_dword v[6:7], v9, off
.LBB97_22:                              ;   in Loop: Header=BB97_9 Depth=1
	s_andn2_b64 vcc, exec, s[12:13]
	s_cbranch_vccnz .LBB97_24
; %bb.23:                               ;   in Loop: Header=BB97_9 Depth=1
	v_mul_lo_u32 v8, s27, v4
	v_mul_lo_u32 v9, s26, v5
	v_mad_u64_u32 v[6:7], s[12:13], s26, v4, 0
	v_add3_u32 v7, v7, v9, v8
	v_lshlrev_b64 v[6:7], 2, v[6:7]
	v_mul_f32_e32 v9, s28, v23
	v_add_co_u32_e32 v6, vcc, v16, v6
	v_addc_co_u32_e32 v7, vcc, v17, v7, vcc
	global_load_dword v8, v[6:7], off
	s_waitcnt vmcnt(0)
	v_fmac_f32_e32 v9, s30, v8
	global_store_dword v[6:7], v9, off
.LBB97_24:                              ;   in Loop: Header=BB97_9 Depth=1
	s_mov_b64 s[12:13], 0
.LBB97_25:                              ;   in Loop: Header=BB97_9 Depth=1
	s_andn2_b64 vcc, exec, s[12:13]
	s_cbranch_vccnz .LBB97_8
; %bb.26:                               ;   in Loop: Header=BB97_9 Depth=1
	v_mul_f32_e32 v6, s28, v23
	s_mov_b64 s[12:13], -1
	s_and_b64 vcc, exec, s[8:9]
	s_cbranch_vccz .LBB97_28
; %bb.27:                               ;   in Loop: Header=BB97_9 Depth=1
	v_lshlrev_b64 v[7:8], 2, v[4:5]
	s_mov_b64 s[12:13], 0
	v_add_co_u32_e32 v7, vcc, v20, v7
	v_addc_co_u32_e32 v8, vcc, v21, v8, vcc
	global_store_dword v[7:8], v6, off
.LBB97_28:                              ;   in Loop: Header=BB97_9 Depth=1
	s_andn2_b64 vcc, exec, s[12:13]
	s_cbranch_vccnz .LBB97_8
; %bb.29:                               ;   in Loop: Header=BB97_9 Depth=1
	v_mul_lo_u32 v7, s27, v4
	v_mul_lo_u32 v8, s26, v5
	v_mad_u64_u32 v[4:5], s[12:13], s26, v4, 0
	v_add3_u32 v5, v5, v8, v7
	v_lshlrev_b64 v[4:5], 2, v[4:5]
	v_add_co_u32_e32 v4, vcc, v16, v4
	v_addc_co_u32_e32 v5, vcc, v17, v5, vcc
	global_store_dword v[4:5], v6, off
	s_branch .LBB97_8
.LBB97_30:
	s_endpgm
	.section	.rodata,"a",@progbits
	.p2align	6, 0x0
	.amdhsa_kernel _ZN9rocsparseL29bsrmmnt_small_blockdim_kernelILj64ELj8ELj2EliaaffEEv20rocsparse_direction_T3_S2_llNS_24const_host_device_scalarIT7_EEPKT2_PKS2_PKT4_PKT5_llS5_PT6_ll16rocsparse_order_21rocsparse_index_base_b
		.amdhsa_group_segment_fixed_size 448
		.amdhsa_private_segment_fixed_size 0
		.amdhsa_kernarg_size 392
		.amdhsa_user_sgpr_count 6
		.amdhsa_user_sgpr_private_segment_buffer 1
		.amdhsa_user_sgpr_dispatch_ptr 0
		.amdhsa_user_sgpr_queue_ptr 0
		.amdhsa_user_sgpr_kernarg_segment_ptr 1
		.amdhsa_user_sgpr_dispatch_id 0
		.amdhsa_user_sgpr_flat_scratch_init 0
		.amdhsa_user_sgpr_private_segment_size 0
		.amdhsa_uses_dynamic_stack 0
		.amdhsa_system_sgpr_private_segment_wavefront_offset 0
		.amdhsa_system_sgpr_workgroup_id_x 1
		.amdhsa_system_sgpr_workgroup_id_y 0
		.amdhsa_system_sgpr_workgroup_id_z 0
		.amdhsa_system_sgpr_workgroup_info 0
		.amdhsa_system_vgpr_workitem_id 0
		.amdhsa_next_free_vgpr 32
		.amdhsa_next_free_sgpr 32
		.amdhsa_reserve_vcc 1
		.amdhsa_reserve_flat_scratch 0
		.amdhsa_float_round_mode_32 0
		.amdhsa_float_round_mode_16_64 0
		.amdhsa_float_denorm_mode_32 3
		.amdhsa_float_denorm_mode_16_64 3
		.amdhsa_dx10_clamp 1
		.amdhsa_ieee_mode 1
		.amdhsa_fp16_overflow 0
		.amdhsa_exception_fp_ieee_invalid_op 0
		.amdhsa_exception_fp_denorm_src 0
		.amdhsa_exception_fp_ieee_div_zero 0
		.amdhsa_exception_fp_ieee_overflow 0
		.amdhsa_exception_fp_ieee_underflow 0
		.amdhsa_exception_fp_ieee_inexact 0
		.amdhsa_exception_int_div_zero 0
	.end_amdhsa_kernel
	.section	.text._ZN9rocsparseL29bsrmmnt_small_blockdim_kernelILj64ELj8ELj2EliaaffEEv20rocsparse_direction_T3_S2_llNS_24const_host_device_scalarIT7_EEPKT2_PKS2_PKT4_PKT5_llS5_PT6_ll16rocsparse_order_21rocsparse_index_base_b,"axG",@progbits,_ZN9rocsparseL29bsrmmnt_small_blockdim_kernelILj64ELj8ELj2EliaaffEEv20rocsparse_direction_T3_S2_llNS_24const_host_device_scalarIT7_EEPKT2_PKS2_PKT4_PKT5_llS5_PT6_ll16rocsparse_order_21rocsparse_index_base_b,comdat
.Lfunc_end97:
	.size	_ZN9rocsparseL29bsrmmnt_small_blockdim_kernelILj64ELj8ELj2EliaaffEEv20rocsparse_direction_T3_S2_llNS_24const_host_device_scalarIT7_EEPKT2_PKS2_PKT4_PKT5_llS5_PT6_ll16rocsparse_order_21rocsparse_index_base_b, .Lfunc_end97-_ZN9rocsparseL29bsrmmnt_small_blockdim_kernelILj64ELj8ELj2EliaaffEEv20rocsparse_direction_T3_S2_llNS_24const_host_device_scalarIT7_EEPKT2_PKS2_PKT4_PKT5_llS5_PT6_ll16rocsparse_order_21rocsparse_index_base_b
                                        ; -- End function
	.set _ZN9rocsparseL29bsrmmnt_small_blockdim_kernelILj64ELj8ELj2EliaaffEEv20rocsparse_direction_T3_S2_llNS_24const_host_device_scalarIT7_EEPKT2_PKS2_PKT4_PKT5_llS5_PT6_ll16rocsparse_order_21rocsparse_index_base_b.num_vgpr, 32
	.set _ZN9rocsparseL29bsrmmnt_small_blockdim_kernelILj64ELj8ELj2EliaaffEEv20rocsparse_direction_T3_S2_llNS_24const_host_device_scalarIT7_EEPKT2_PKS2_PKT4_PKT5_llS5_PT6_ll16rocsparse_order_21rocsparse_index_base_b.num_agpr, 0
	.set _ZN9rocsparseL29bsrmmnt_small_blockdim_kernelILj64ELj8ELj2EliaaffEEv20rocsparse_direction_T3_S2_llNS_24const_host_device_scalarIT7_EEPKT2_PKS2_PKT4_PKT5_llS5_PT6_ll16rocsparse_order_21rocsparse_index_base_b.numbered_sgpr, 32
	.set _ZN9rocsparseL29bsrmmnt_small_blockdim_kernelILj64ELj8ELj2EliaaffEEv20rocsparse_direction_T3_S2_llNS_24const_host_device_scalarIT7_EEPKT2_PKS2_PKT4_PKT5_llS5_PT6_ll16rocsparse_order_21rocsparse_index_base_b.num_named_barrier, 0
	.set _ZN9rocsparseL29bsrmmnt_small_blockdim_kernelILj64ELj8ELj2EliaaffEEv20rocsparse_direction_T3_S2_llNS_24const_host_device_scalarIT7_EEPKT2_PKS2_PKT4_PKT5_llS5_PT6_ll16rocsparse_order_21rocsparse_index_base_b.private_seg_size, 0
	.set _ZN9rocsparseL29bsrmmnt_small_blockdim_kernelILj64ELj8ELj2EliaaffEEv20rocsparse_direction_T3_S2_llNS_24const_host_device_scalarIT7_EEPKT2_PKS2_PKT4_PKT5_llS5_PT6_ll16rocsparse_order_21rocsparse_index_base_b.uses_vcc, 1
	.set _ZN9rocsparseL29bsrmmnt_small_blockdim_kernelILj64ELj8ELj2EliaaffEEv20rocsparse_direction_T3_S2_llNS_24const_host_device_scalarIT7_EEPKT2_PKS2_PKT4_PKT5_llS5_PT6_ll16rocsparse_order_21rocsparse_index_base_b.uses_flat_scratch, 0
	.set _ZN9rocsparseL29bsrmmnt_small_blockdim_kernelILj64ELj8ELj2EliaaffEEv20rocsparse_direction_T3_S2_llNS_24const_host_device_scalarIT7_EEPKT2_PKS2_PKT4_PKT5_llS5_PT6_ll16rocsparse_order_21rocsparse_index_base_b.has_dyn_sized_stack, 0
	.set _ZN9rocsparseL29bsrmmnt_small_blockdim_kernelILj64ELj8ELj2EliaaffEEv20rocsparse_direction_T3_S2_llNS_24const_host_device_scalarIT7_EEPKT2_PKS2_PKT4_PKT5_llS5_PT6_ll16rocsparse_order_21rocsparse_index_base_b.has_recursion, 0
	.set _ZN9rocsparseL29bsrmmnt_small_blockdim_kernelILj64ELj8ELj2EliaaffEEv20rocsparse_direction_T3_S2_llNS_24const_host_device_scalarIT7_EEPKT2_PKS2_PKT4_PKT5_llS5_PT6_ll16rocsparse_order_21rocsparse_index_base_b.has_indirect_call, 0
	.section	.AMDGPU.csdata,"",@progbits
; Kernel info:
; codeLenInByte = 1360
; TotalNumSgprs: 36
; NumVgprs: 32
; ScratchSize: 0
; MemoryBound: 0
; FloatMode: 240
; IeeeMode: 1
; LDSByteSize: 448 bytes/workgroup (compile time only)
; SGPRBlocks: 4
; VGPRBlocks: 7
; NumSGPRsForWavesPerEU: 36
; NumVGPRsForWavesPerEU: 32
; Occupancy: 8
; WaveLimiterHint : 0
; COMPUTE_PGM_RSRC2:SCRATCH_EN: 0
; COMPUTE_PGM_RSRC2:USER_SGPR: 6
; COMPUTE_PGM_RSRC2:TRAP_HANDLER: 0
; COMPUTE_PGM_RSRC2:TGID_X_EN: 1
; COMPUTE_PGM_RSRC2:TGID_Y_EN: 0
; COMPUTE_PGM_RSRC2:TGID_Z_EN: 0
; COMPUTE_PGM_RSRC2:TIDIG_COMP_CNT: 0
	.section	.text._ZN9rocsparseL29bsrmmnt_small_blockdim_kernelILj64ELj16ELj2EliaaffEEv20rocsparse_direction_T3_S2_llNS_24const_host_device_scalarIT7_EEPKT2_PKS2_PKT4_PKT5_llS5_PT6_ll16rocsparse_order_21rocsparse_index_base_b,"axG",@progbits,_ZN9rocsparseL29bsrmmnt_small_blockdim_kernelILj64ELj16ELj2EliaaffEEv20rocsparse_direction_T3_S2_llNS_24const_host_device_scalarIT7_EEPKT2_PKS2_PKT4_PKT5_llS5_PT6_ll16rocsparse_order_21rocsparse_index_base_b,comdat
	.globl	_ZN9rocsparseL29bsrmmnt_small_blockdim_kernelILj64ELj16ELj2EliaaffEEv20rocsparse_direction_T3_S2_llNS_24const_host_device_scalarIT7_EEPKT2_PKS2_PKT4_PKT5_llS5_PT6_ll16rocsparse_order_21rocsparse_index_base_b ; -- Begin function _ZN9rocsparseL29bsrmmnt_small_blockdim_kernelILj64ELj16ELj2EliaaffEEv20rocsparse_direction_T3_S2_llNS_24const_host_device_scalarIT7_EEPKT2_PKS2_PKT4_PKT5_llS5_PT6_ll16rocsparse_order_21rocsparse_index_base_b
	.p2align	8
	.type	_ZN9rocsparseL29bsrmmnt_small_blockdim_kernelILj64ELj16ELj2EliaaffEEv20rocsparse_direction_T3_S2_llNS_24const_host_device_scalarIT7_EEPKT2_PKS2_PKT4_PKT5_llS5_PT6_ll16rocsparse_order_21rocsparse_index_base_b,@function
_ZN9rocsparseL29bsrmmnt_small_blockdim_kernelILj64ELj16ELj2EliaaffEEv20rocsparse_direction_T3_S2_llNS_24const_host_device_scalarIT7_EEPKT2_PKS2_PKT4_PKT5_llS5_PT6_ll16rocsparse_order_21rocsparse_index_base_b: ; @_ZN9rocsparseL29bsrmmnt_small_blockdim_kernelILj64ELj16ELj2EliaaffEEv20rocsparse_direction_T3_S2_llNS_24const_host_device_scalarIT7_EEPKT2_PKS2_PKT4_PKT5_llS5_PT6_ll16rocsparse_order_21rocsparse_index_base_b
; %bb.0:
	s_load_dwordx4 s[16:19], s[4:5], 0x78
	s_load_dwordx2 s[28:29], s[4:5], 0x20
	s_load_dwordx2 s[30:31], s[4:5], 0x58
	s_waitcnt lgkmcnt(0)
	s_bitcmp1_b32 s18, 0
	s_cselect_b64 s[2:3], -1, 0
	s_xor_b64 s[0:1], s[2:3], -1
	s_and_b64 vcc, exec, s[2:3]
	s_cbranch_vccnz .LBB98_2
; %bb.1:
	s_load_dword s28, s[28:29], 0x0
.LBB98_2:
	s_andn2_b64 vcc, exec, s[0:1]
	s_cbranch_vccnz .LBB98_4
; %bb.3:
	s_load_dword s30, s[30:31], 0x0
.LBB98_4:
	s_waitcnt lgkmcnt(0)
	v_cmp_eq_f32_e64 s[0:1], s28, 0
	v_cmp_eq_f32_e64 s[2:3], s30, 1.0
	s_and_b64 s[0:1], s[0:1], s[2:3]
	s_and_b64 vcc, exec, s[0:1]
	s_cbranch_vccnz .LBB98_30
; %bb.5:
	s_load_dword s0, s[4:5], 0x94
	s_load_dwordx4 s[20:23], s[4:5], 0x0
	s_waitcnt lgkmcnt(0)
	s_and_b32 s0, s0, 0xffff
	s_mul_i32 s6, s6, s0
	v_add_u32_e32 v1, s6, v0
	v_lshrrev_b32_e32 v2, 5, v1
	v_cmp_gt_i32_e32 vcc, s21, v2
	s_and_saveexec_b64 s[0:1], vcc
	s_cbranch_execz .LBB98_30
; %bb.6:
	s_cmp_lt_i32 s22, 1
	s_cbranch_scc1 .LBB98_30
; %bb.7:
	s_load_dwordx8 s[8:15], s[4:5], 0x28
	v_lshlrev_b32_e32 v2, 3, v2
	s_cmp_lg_u32 s16, 1
	v_and_b32_e32 v12, 15, v0
	v_lshrrev_b32_e32 v0, 4, v0
	s_waitcnt lgkmcnt(0)
	global_load_dwordx4 v[4:7], v2, s[8:9]
	s_load_dwordx4 s[24:27], s[4:5], 0x60
	s_load_dwordx2 s[6:7], s[4:5], 0x48
	s_cselect_b64 s[8:9], -1, 0
	s_cmp_eq_u32 s20, 0
	v_lshlrev_b32_e32 v13, 6, v0
	v_mul_u32_u24_e32 v0, 48, v0
	s_cselect_b64 s[0:1], -1, 0
	v_lshrrev_b32_e32 v2, 4, v1
	v_bfe_u32 v1, v1, 4, 1
	v_or_b32_e32 v15, 0x100, v0
	v_cndmask_b32_e64 v0, 0, 1, s[0:1]
	v_lshlrev_b32_e32 v9, v0, v1
	s_and_b64 s[0:1], s[0:1], exec
	s_waitcnt lgkmcnt(0)
	v_mad_u64_u32 v[0:1], s[0:1], s26, v2, 0
	v_lshlrev_b32_e32 v3, 2, v2
	v_mov_b32_e32 v11, s25
	v_mad_u64_u32 v[1:2], s[0:1], s27, v2, v[1:2]
	v_add_co_u32_e32 v16, vcc, s24, v3
	v_addc_co_u32_e32 v17, vcc, 0, v11, vcc
	v_mov_b32_e32 v19, s13
	v_add_co_u32_e32 v18, vcc, s12, v9
	v_lshlrev_b64 v[0:1], 2, v[0:1]
	v_addc_co_u32_e32 v19, vcc, 0, v19, vcc
	v_mov_b32_e32 v10, s25
	v_add_co_u32_e32 v20, vcc, s24, v0
	v_addc_co_u32_e32 v21, vcc, v10, v1, vcc
	v_mul_u32_u24_e32 v8, 3, v12
	s_mov_b32 s23, 0
	v_cmp_neq_f32_e64 s[4:5], s30, 0
	v_lshl_or_b32 v14, v12, 2, v13
	s_cselect_b32 s16, 1, 2
	v_add_u32_e32 v22, v15, v8
	s_waitcnt vmcnt(0)
	v_subrev_co_u32_e32 v0, vcc, s17, v4
	v_subbrev_co_u32_e32 v1, vcc, 0, v5, vcc
	v_subrev_co_u32_e32 v2, vcc, s17, v6
	v_cmp_lt_i64_e64 s[0:1], v[4:5], v[6:7]
	v_subbrev_co_u32_e32 v3, vcc, 0, v7, vcc
	s_branch .LBB98_9
.LBB98_8:                               ;   in Loop: Header=BB98_9 Depth=1
	s_or_b64 exec, exec, s[2:3]
	s_add_i32 s23, s23, 16
	s_cmp_lt_i32 s23, s22
	s_cbranch_scc0 .LBB98_30
.LBB98_9:                               ; =>This Loop Header: Depth=1
                                        ;     Child Loop BB98_12 Depth 2
                                        ;       Child Loop BB98_16 Depth 3
	v_or_b32_e32 v4, s23, v12
	v_ashrrev_i32_e32 v5, 31, v4
	v_mov_b32_e32 v23, 0
	s_and_saveexec_b64 s[12:13], s[0:1]
	s_cbranch_execz .LBB98_18
; %bb.10:                               ;   in Loop: Header=BB98_9 Depth=1
	v_mov_b32_e32 v7, s15
	v_add_co_u32_e64 v6, s[2:3], s14, v4
	v_mov_b32_e32 v9, v1
	v_cmp_gt_i32_e32 vcc, s22, v4
	v_addc_co_u32_e64 v7, s[2:3], v7, v5, s[2:3]
	v_mov_b32_e32 v23, 0
	s_mov_b64 s[18:19], 0
	v_mov_b32_e32 v8, v0
	s_branch .LBB98_12
.LBB98_11:                              ;   in Loop: Header=BB98_12 Depth=2
	s_or_b64 exec, exec, s[2:3]
	v_add_co_u32_e64 v8, s[2:3], 16, v8
	v_addc_co_u32_e64 v9, s[2:3], 0, v9, s[2:3]
	v_cmp_ge_i64_e64 s[2:3], v[8:9], v[2:3]
	s_or_b64 s[18:19], s[2:3], s[18:19]
	s_andn2_b64 exec, exec, s[18:19]
	s_cbranch_execz .LBB98_17
.LBB98_12:                              ;   Parent Loop BB98_9 Depth=1
                                        ; =>  This Loop Header: Depth=2
                                        ;       Child Loop BB98_16 Depth 3
	v_add_co_u32_e64 v10, s[2:3], v8, v12
	v_addc_co_u32_e64 v11, s[2:3], 0, v9, s[2:3]
	v_cmp_lt_i64_e64 s[2:3], v[10:11], v[2:3]
	v_mov_b32_e32 v26, 0
	v_mov_b32_e32 v24, 0
	v_mov_b32_e32 v25, 0
	s_and_saveexec_b64 s[20:21], s[2:3]
	s_cbranch_execz .LBB98_14
; %bb.13:                               ;   in Loop: Header=BB98_12 Depth=2
	v_lshlrev_b64 v[10:11], 2, v[10:11]
	v_mov_b32_e32 v25, s11
	v_add_co_u32_e64 v24, s[2:3], s10, v10
	v_addc_co_u32_e64 v25, s[2:3], v25, v11, s[2:3]
	v_add_co_u32_e64 v10, s[2:3], v18, v10
	global_load_dword v28, v[24:25], off
	v_addc_co_u32_e64 v11, s[2:3], v19, v11, s[2:3]
	v_add_co_u32_e64 v26, s[2:3], s16, v10
	v_addc_co_u32_e64 v27, s[2:3], 0, v11, s[2:3]
	global_load_ubyte v24, v[10:11], off
	global_load_ubyte v25, v[26:27], off
	s_waitcnt vmcnt(2)
	v_subrev_u32_e32 v10, s17, v28
	v_lshlrev_b32_e32 v26, 1, v10
.LBB98_14:                              ;   in Loop: Header=BB98_12 Depth=2
	s_or_b64 exec, exec, s[20:21]
	ds_write_b32 v14, v26
	s_waitcnt vmcnt(1)
	ds_write_b8 v22, v24
	s_waitcnt vmcnt(0)
	ds_write_b8 v22, v25 offset:1
	s_waitcnt lgkmcnt(0)
	; wave barrier
	s_and_saveexec_b64 s[2:3], vcc
	s_cbranch_execz .LBB98_11
; %bb.15:                               ;   in Loop: Header=BB98_12 Depth=2
	s_mov_b32 s20, 0
	v_mov_b32_e32 v10, v15
.LBB98_16:                              ;   Parent Loop BB98_9 Depth=1
                                        ;     Parent Loop BB98_12 Depth=2
                                        ; =>    This Inner Loop Header: Depth=3
	v_add_u32_e32 v11, s20, v13
	ds_read_b64 v[24:25], v11
	s_add_i32 s20, s20, 8
	s_cmp_lg_u32 s20, 64
	s_waitcnt lgkmcnt(0)
	v_ashrrev_i32_e32 v11, 31, v24
	v_mul_lo_u32 v11, s6, v11
	v_mul_lo_u32 v28, s7, v24
	v_mad_u64_u32 v[26:27], s[24:25], s6, v24, v[6:7]
	v_add3_u32 v27, v28, v27, v11
	global_load_sbyte v11, v[26:27], off
	ds_read_u16 v26, v10
	ds_read_i8 v28, v10 offset:3
	ds_read_i8 v29, v10 offset:4
	v_add_u32_e32 v10, 6, v10
	s_waitcnt lgkmcnt(2)
	v_bfe_i32 v27, v26, 0, 8
	v_ashrrev_i16_e32 v30, 8, v26
	v_cvt_f32_i32_sdwa v26, sext(v27) dst_sel:DWORD dst_unused:UNUSED_PAD src0_sel:WORD_0
	s_waitcnt vmcnt(0)
	v_cvt_f32_i32_e32 v11, v11
	v_fmac_f32_e32 v23, v26, v11
	v_add_u32_e32 v11, 1, v24
	v_ashrrev_i32_e32 v24, 31, v11
	v_mul_lo_u32 v24, s6, v24
	v_mul_lo_u32 v31, s7, v11
	v_mad_u64_u32 v[26:27], s[24:25], s6, v11, v[6:7]
	v_add3_u32 v27, v31, v27, v24
	global_load_sbyte v11, v[26:27], off
	v_cvt_f32_i32_sdwa v24, sext(v30) dst_sel:DWORD dst_unused:UNUSED_PAD src0_sel:WORD_0
	v_mad_u64_u32 v[26:27], s[24:25], s6, v25, v[6:7]
	s_waitcnt vmcnt(0)
	v_cvt_f32_i32_e32 v11, v11
	v_fmac_f32_e32 v23, v24, v11
	v_ashrrev_i32_e32 v11, 31, v25
	v_mul_lo_u32 v11, s6, v11
	v_mul_lo_u32 v24, s7, v25
	v_add3_u32 v27, v24, v27, v11
	global_load_sbyte v11, v[26:27], off
	s_waitcnt lgkmcnt(1)
	v_cvt_f32_i32_e32 v24, v28
	s_waitcnt vmcnt(0)
	v_cvt_f32_i32_e32 v11, v11
	v_fmac_f32_e32 v23, v24, v11
	v_add_u32_e32 v11, 1, v25
	v_ashrrev_i32_e32 v24, 31, v11
	v_mul_lo_u32 v26, s6, v24
	v_mul_lo_u32 v27, s7, v11
	v_mad_u64_u32 v[24:25], s[24:25], s6, v11, v[6:7]
	v_add3_u32 v25, v27, v25, v26
	global_load_sbyte v11, v[24:25], off
	s_waitcnt lgkmcnt(0)
	v_cvt_f32_i32_e32 v24, v29
	s_waitcnt vmcnt(0)
	v_cvt_f32_i32_e32 v11, v11
	v_fmac_f32_e32 v23, v24, v11
	s_cbranch_scc1 .LBB98_16
	s_branch .LBB98_11
.LBB98_17:                              ;   in Loop: Header=BB98_9 Depth=1
	s_or_b64 exec, exec, s[18:19]
.LBB98_18:                              ;   in Loop: Header=BB98_9 Depth=1
	s_or_b64 exec, exec, s[12:13]
	v_cmp_gt_i32_e32 vcc, s22, v4
	s_and_saveexec_b64 s[2:3], vcc
	s_cbranch_execz .LBB98_8
; %bb.19:                               ;   in Loop: Header=BB98_9 Depth=1
	s_mov_b64 s[12:13], -1
	s_and_b64 vcc, exec, s[4:5]
	s_cbranch_vccz .LBB98_25
; %bb.20:                               ;   in Loop: Header=BB98_9 Depth=1
	s_and_b64 vcc, exec, s[8:9]
	s_cbranch_vccz .LBB98_22
; %bb.21:                               ;   in Loop: Header=BB98_9 Depth=1
	v_lshlrev_b64 v[6:7], 2, v[4:5]
	v_mul_f32_e32 v9, s28, v23
	v_add_co_u32_e32 v6, vcc, v20, v6
	v_addc_co_u32_e32 v7, vcc, v21, v7, vcc
	global_load_dword v8, v[6:7], off
	s_mov_b64 s[12:13], 0
	s_waitcnt vmcnt(0)
	v_fmac_f32_e32 v9, s30, v8
	global_store_dword v[6:7], v9, off
.LBB98_22:                              ;   in Loop: Header=BB98_9 Depth=1
	s_andn2_b64 vcc, exec, s[12:13]
	s_cbranch_vccnz .LBB98_24
; %bb.23:                               ;   in Loop: Header=BB98_9 Depth=1
	v_mul_lo_u32 v8, s27, v4
	v_mul_lo_u32 v9, s26, v5
	v_mad_u64_u32 v[6:7], s[12:13], s26, v4, 0
	v_add3_u32 v7, v7, v9, v8
	v_lshlrev_b64 v[6:7], 2, v[6:7]
	v_mul_f32_e32 v9, s28, v23
	v_add_co_u32_e32 v6, vcc, v16, v6
	v_addc_co_u32_e32 v7, vcc, v17, v7, vcc
	global_load_dword v8, v[6:7], off
	s_waitcnt vmcnt(0)
	v_fmac_f32_e32 v9, s30, v8
	global_store_dword v[6:7], v9, off
.LBB98_24:                              ;   in Loop: Header=BB98_9 Depth=1
	s_mov_b64 s[12:13], 0
.LBB98_25:                              ;   in Loop: Header=BB98_9 Depth=1
	s_andn2_b64 vcc, exec, s[12:13]
	s_cbranch_vccnz .LBB98_8
; %bb.26:                               ;   in Loop: Header=BB98_9 Depth=1
	v_mul_f32_e32 v6, s28, v23
	s_mov_b64 s[12:13], -1
	s_and_b64 vcc, exec, s[8:9]
	s_cbranch_vccz .LBB98_28
; %bb.27:                               ;   in Loop: Header=BB98_9 Depth=1
	v_lshlrev_b64 v[7:8], 2, v[4:5]
	s_mov_b64 s[12:13], 0
	v_add_co_u32_e32 v7, vcc, v20, v7
	v_addc_co_u32_e32 v8, vcc, v21, v8, vcc
	global_store_dword v[7:8], v6, off
.LBB98_28:                              ;   in Loop: Header=BB98_9 Depth=1
	s_andn2_b64 vcc, exec, s[12:13]
	s_cbranch_vccnz .LBB98_8
; %bb.29:                               ;   in Loop: Header=BB98_9 Depth=1
	v_mul_lo_u32 v7, s27, v4
	v_mul_lo_u32 v8, s26, v5
	v_mad_u64_u32 v[4:5], s[12:13], s26, v4, 0
	v_add3_u32 v5, v5, v8, v7
	v_lshlrev_b64 v[4:5], 2, v[4:5]
	v_add_co_u32_e32 v4, vcc, v16, v4
	v_addc_co_u32_e32 v5, vcc, v17, v5, vcc
	global_store_dword v[4:5], v6, off
	s_branch .LBB98_8
.LBB98_30:
	s_endpgm
	.section	.rodata,"a",@progbits
	.p2align	6, 0x0
	.amdhsa_kernel _ZN9rocsparseL29bsrmmnt_small_blockdim_kernelILj64ELj16ELj2EliaaffEEv20rocsparse_direction_T3_S2_llNS_24const_host_device_scalarIT7_EEPKT2_PKS2_PKT4_PKT5_llS5_PT6_ll16rocsparse_order_21rocsparse_index_base_b
		.amdhsa_group_segment_fixed_size 448
		.amdhsa_private_segment_fixed_size 0
		.amdhsa_kernarg_size 392
		.amdhsa_user_sgpr_count 6
		.amdhsa_user_sgpr_private_segment_buffer 1
		.amdhsa_user_sgpr_dispatch_ptr 0
		.amdhsa_user_sgpr_queue_ptr 0
		.amdhsa_user_sgpr_kernarg_segment_ptr 1
		.amdhsa_user_sgpr_dispatch_id 0
		.amdhsa_user_sgpr_flat_scratch_init 0
		.amdhsa_user_sgpr_private_segment_size 0
		.amdhsa_uses_dynamic_stack 0
		.amdhsa_system_sgpr_private_segment_wavefront_offset 0
		.amdhsa_system_sgpr_workgroup_id_x 1
		.amdhsa_system_sgpr_workgroup_id_y 0
		.amdhsa_system_sgpr_workgroup_id_z 0
		.amdhsa_system_sgpr_workgroup_info 0
		.amdhsa_system_vgpr_workitem_id 0
		.amdhsa_next_free_vgpr 32
		.amdhsa_next_free_sgpr 32
		.amdhsa_reserve_vcc 1
		.amdhsa_reserve_flat_scratch 0
		.amdhsa_float_round_mode_32 0
		.amdhsa_float_round_mode_16_64 0
		.amdhsa_float_denorm_mode_32 3
		.amdhsa_float_denorm_mode_16_64 3
		.amdhsa_dx10_clamp 1
		.amdhsa_ieee_mode 1
		.amdhsa_fp16_overflow 0
		.amdhsa_exception_fp_ieee_invalid_op 0
		.amdhsa_exception_fp_denorm_src 0
		.amdhsa_exception_fp_ieee_div_zero 0
		.amdhsa_exception_fp_ieee_overflow 0
		.amdhsa_exception_fp_ieee_underflow 0
		.amdhsa_exception_fp_ieee_inexact 0
		.amdhsa_exception_int_div_zero 0
	.end_amdhsa_kernel
	.section	.text._ZN9rocsparseL29bsrmmnt_small_blockdim_kernelILj64ELj16ELj2EliaaffEEv20rocsparse_direction_T3_S2_llNS_24const_host_device_scalarIT7_EEPKT2_PKS2_PKT4_PKT5_llS5_PT6_ll16rocsparse_order_21rocsparse_index_base_b,"axG",@progbits,_ZN9rocsparseL29bsrmmnt_small_blockdim_kernelILj64ELj16ELj2EliaaffEEv20rocsparse_direction_T3_S2_llNS_24const_host_device_scalarIT7_EEPKT2_PKS2_PKT4_PKT5_llS5_PT6_ll16rocsparse_order_21rocsparse_index_base_b,comdat
.Lfunc_end98:
	.size	_ZN9rocsparseL29bsrmmnt_small_blockdim_kernelILj64ELj16ELj2EliaaffEEv20rocsparse_direction_T3_S2_llNS_24const_host_device_scalarIT7_EEPKT2_PKS2_PKT4_PKT5_llS5_PT6_ll16rocsparse_order_21rocsparse_index_base_b, .Lfunc_end98-_ZN9rocsparseL29bsrmmnt_small_blockdim_kernelILj64ELj16ELj2EliaaffEEv20rocsparse_direction_T3_S2_llNS_24const_host_device_scalarIT7_EEPKT2_PKS2_PKT4_PKT5_llS5_PT6_ll16rocsparse_order_21rocsparse_index_base_b
                                        ; -- End function
	.set _ZN9rocsparseL29bsrmmnt_small_blockdim_kernelILj64ELj16ELj2EliaaffEEv20rocsparse_direction_T3_S2_llNS_24const_host_device_scalarIT7_EEPKT2_PKS2_PKT4_PKT5_llS5_PT6_ll16rocsparse_order_21rocsparse_index_base_b.num_vgpr, 32
	.set _ZN9rocsparseL29bsrmmnt_small_blockdim_kernelILj64ELj16ELj2EliaaffEEv20rocsparse_direction_T3_S2_llNS_24const_host_device_scalarIT7_EEPKT2_PKS2_PKT4_PKT5_llS5_PT6_ll16rocsparse_order_21rocsparse_index_base_b.num_agpr, 0
	.set _ZN9rocsparseL29bsrmmnt_small_blockdim_kernelILj64ELj16ELj2EliaaffEEv20rocsparse_direction_T3_S2_llNS_24const_host_device_scalarIT7_EEPKT2_PKS2_PKT4_PKT5_llS5_PT6_ll16rocsparse_order_21rocsparse_index_base_b.numbered_sgpr, 32
	.set _ZN9rocsparseL29bsrmmnt_small_blockdim_kernelILj64ELj16ELj2EliaaffEEv20rocsparse_direction_T3_S2_llNS_24const_host_device_scalarIT7_EEPKT2_PKS2_PKT4_PKT5_llS5_PT6_ll16rocsparse_order_21rocsparse_index_base_b.num_named_barrier, 0
	.set _ZN9rocsparseL29bsrmmnt_small_blockdim_kernelILj64ELj16ELj2EliaaffEEv20rocsparse_direction_T3_S2_llNS_24const_host_device_scalarIT7_EEPKT2_PKS2_PKT4_PKT5_llS5_PT6_ll16rocsparse_order_21rocsparse_index_base_b.private_seg_size, 0
	.set _ZN9rocsparseL29bsrmmnt_small_blockdim_kernelILj64ELj16ELj2EliaaffEEv20rocsparse_direction_T3_S2_llNS_24const_host_device_scalarIT7_EEPKT2_PKS2_PKT4_PKT5_llS5_PT6_ll16rocsparse_order_21rocsparse_index_base_b.uses_vcc, 1
	.set _ZN9rocsparseL29bsrmmnt_small_blockdim_kernelILj64ELj16ELj2EliaaffEEv20rocsparse_direction_T3_S2_llNS_24const_host_device_scalarIT7_EEPKT2_PKS2_PKT4_PKT5_llS5_PT6_ll16rocsparse_order_21rocsparse_index_base_b.uses_flat_scratch, 0
	.set _ZN9rocsparseL29bsrmmnt_small_blockdim_kernelILj64ELj16ELj2EliaaffEEv20rocsparse_direction_T3_S2_llNS_24const_host_device_scalarIT7_EEPKT2_PKS2_PKT4_PKT5_llS5_PT6_ll16rocsparse_order_21rocsparse_index_base_b.has_dyn_sized_stack, 0
	.set _ZN9rocsparseL29bsrmmnt_small_blockdim_kernelILj64ELj16ELj2EliaaffEEv20rocsparse_direction_T3_S2_llNS_24const_host_device_scalarIT7_EEPKT2_PKS2_PKT4_PKT5_llS5_PT6_ll16rocsparse_order_21rocsparse_index_base_b.has_recursion, 0
	.set _ZN9rocsparseL29bsrmmnt_small_blockdim_kernelILj64ELj16ELj2EliaaffEEv20rocsparse_direction_T3_S2_llNS_24const_host_device_scalarIT7_EEPKT2_PKS2_PKT4_PKT5_llS5_PT6_ll16rocsparse_order_21rocsparse_index_base_b.has_indirect_call, 0
	.section	.AMDGPU.csdata,"",@progbits
; Kernel info:
; codeLenInByte = 1360
; TotalNumSgprs: 36
; NumVgprs: 32
; ScratchSize: 0
; MemoryBound: 0
; FloatMode: 240
; IeeeMode: 1
; LDSByteSize: 448 bytes/workgroup (compile time only)
; SGPRBlocks: 4
; VGPRBlocks: 7
; NumSGPRsForWavesPerEU: 36
; NumVGPRsForWavesPerEU: 32
; Occupancy: 8
; WaveLimiterHint : 0
; COMPUTE_PGM_RSRC2:SCRATCH_EN: 0
; COMPUTE_PGM_RSRC2:USER_SGPR: 6
; COMPUTE_PGM_RSRC2:TRAP_HANDLER: 0
; COMPUTE_PGM_RSRC2:TGID_X_EN: 1
; COMPUTE_PGM_RSRC2:TGID_Y_EN: 0
; COMPUTE_PGM_RSRC2:TGID_Z_EN: 0
; COMPUTE_PGM_RSRC2:TIDIG_COMP_CNT: 0
	.section	.text._ZN9rocsparseL29bsrmmnt_small_blockdim_kernelILj64ELj32ELj2EliaaffEEv20rocsparse_direction_T3_S2_llNS_24const_host_device_scalarIT7_EEPKT2_PKS2_PKT4_PKT5_llS5_PT6_ll16rocsparse_order_21rocsparse_index_base_b,"axG",@progbits,_ZN9rocsparseL29bsrmmnt_small_blockdim_kernelILj64ELj32ELj2EliaaffEEv20rocsparse_direction_T3_S2_llNS_24const_host_device_scalarIT7_EEPKT2_PKS2_PKT4_PKT5_llS5_PT6_ll16rocsparse_order_21rocsparse_index_base_b,comdat
	.globl	_ZN9rocsparseL29bsrmmnt_small_blockdim_kernelILj64ELj32ELj2EliaaffEEv20rocsparse_direction_T3_S2_llNS_24const_host_device_scalarIT7_EEPKT2_PKS2_PKT4_PKT5_llS5_PT6_ll16rocsparse_order_21rocsparse_index_base_b ; -- Begin function _ZN9rocsparseL29bsrmmnt_small_blockdim_kernelILj64ELj32ELj2EliaaffEEv20rocsparse_direction_T3_S2_llNS_24const_host_device_scalarIT7_EEPKT2_PKS2_PKT4_PKT5_llS5_PT6_ll16rocsparse_order_21rocsparse_index_base_b
	.p2align	8
	.type	_ZN9rocsparseL29bsrmmnt_small_blockdim_kernelILj64ELj32ELj2EliaaffEEv20rocsparse_direction_T3_S2_llNS_24const_host_device_scalarIT7_EEPKT2_PKS2_PKT4_PKT5_llS5_PT6_ll16rocsparse_order_21rocsparse_index_base_b,@function
_ZN9rocsparseL29bsrmmnt_small_blockdim_kernelILj64ELj32ELj2EliaaffEEv20rocsparse_direction_T3_S2_llNS_24const_host_device_scalarIT7_EEPKT2_PKS2_PKT4_PKT5_llS5_PT6_ll16rocsparse_order_21rocsparse_index_base_b: ; @_ZN9rocsparseL29bsrmmnt_small_blockdim_kernelILj64ELj32ELj2EliaaffEEv20rocsparse_direction_T3_S2_llNS_24const_host_device_scalarIT7_EEPKT2_PKS2_PKT4_PKT5_llS5_PT6_ll16rocsparse_order_21rocsparse_index_base_b
; %bb.0:
	s_load_dwordx4 s[16:19], s[4:5], 0x78
	s_load_dwordx2 s[28:29], s[4:5], 0x20
	s_load_dwordx2 s[30:31], s[4:5], 0x58
	s_waitcnt lgkmcnt(0)
	s_bitcmp1_b32 s18, 0
	s_cselect_b64 s[2:3], -1, 0
	s_xor_b64 s[0:1], s[2:3], -1
	s_and_b64 vcc, exec, s[2:3]
	s_cbranch_vccnz .LBB99_2
; %bb.1:
	s_load_dword s28, s[28:29], 0x0
.LBB99_2:
	s_andn2_b64 vcc, exec, s[0:1]
	s_cbranch_vccnz .LBB99_4
; %bb.3:
	s_load_dword s30, s[30:31], 0x0
.LBB99_4:
	s_waitcnt lgkmcnt(0)
	v_cmp_eq_f32_e64 s[0:1], s28, 0
	v_cmp_eq_f32_e64 s[2:3], s30, 1.0
	s_and_b64 s[0:1], s[0:1], s[2:3]
	s_and_b64 vcc, exec, s[0:1]
	s_cbranch_vccnz .LBB99_30
; %bb.5:
	s_load_dword s0, s[4:5], 0x94
	s_load_dwordx4 s[20:23], s[4:5], 0x0
	s_waitcnt lgkmcnt(0)
	s_and_b32 s0, s0, 0xffff
	s_mul_i32 s6, s6, s0
	v_add_u32_e32 v1, s6, v0
	v_lshrrev_b32_e32 v2, 6, v1
	v_cmp_gt_i32_e32 vcc, s21, v2
	s_and_saveexec_b64 s[0:1], vcc
	s_cbranch_execz .LBB99_30
; %bb.6:
	s_cmp_lt_i32 s22, 1
	s_cbranch_scc1 .LBB99_30
; %bb.7:
	s_load_dwordx8 s[8:15], s[4:5], 0x28
	v_lshlrev_b32_e32 v2, 3, v2
	s_cmp_lg_u32 s16, 1
	v_and_b32_e32 v12, 31, v0
	v_lshrrev_b32_e32 v0, 5, v0
	s_waitcnt lgkmcnt(0)
	global_load_dwordx4 v[4:7], v2, s[8:9]
	s_load_dwordx4 s[24:27], s[4:5], 0x60
	s_load_dwordx2 s[6:7], s[4:5], 0x48
	s_cselect_b64 s[8:9], -1, 0
	s_cmp_eq_u32 s20, 0
	v_lshlrev_b32_e32 v13, 7, v0
	v_mul_u32_u24_e32 v0, 0x60, v0
	s_cselect_b64 s[0:1], -1, 0
	v_lshrrev_b32_e32 v2, 5, v1
	v_bfe_u32 v1, v1, 5, 1
	v_or_b32_e32 v15, 0x100, v0
	v_cndmask_b32_e64 v0, 0, 1, s[0:1]
	v_lshlrev_b32_e32 v9, v0, v1
	s_and_b64 s[0:1], s[0:1], exec
	s_waitcnt lgkmcnt(0)
	v_mad_u64_u32 v[0:1], s[0:1], s26, v2, 0
	v_lshlrev_b32_e32 v3, 2, v2
	v_mov_b32_e32 v11, s25
	v_mad_u64_u32 v[1:2], s[0:1], s27, v2, v[1:2]
	v_add_co_u32_e32 v16, vcc, s24, v3
	v_addc_co_u32_e32 v17, vcc, 0, v11, vcc
	v_mov_b32_e32 v19, s13
	v_add_co_u32_e32 v18, vcc, s12, v9
	v_lshlrev_b64 v[0:1], 2, v[0:1]
	v_addc_co_u32_e32 v19, vcc, 0, v19, vcc
	v_mov_b32_e32 v10, s25
	v_add_co_u32_e32 v20, vcc, s24, v0
	v_addc_co_u32_e32 v21, vcc, v10, v1, vcc
	v_mul_u32_u24_e32 v8, 3, v12
	s_mov_b32 s23, 0
	v_cmp_neq_f32_e64 s[4:5], s30, 0
	v_lshl_or_b32 v14, v12, 2, v13
	s_cselect_b32 s16, 1, 2
	v_add_u32_e32 v22, v15, v8
	s_waitcnt vmcnt(0)
	v_subrev_co_u32_e32 v0, vcc, s17, v4
	v_subbrev_co_u32_e32 v1, vcc, 0, v5, vcc
	v_subrev_co_u32_e32 v2, vcc, s17, v6
	v_cmp_lt_i64_e64 s[0:1], v[4:5], v[6:7]
	v_subbrev_co_u32_e32 v3, vcc, 0, v7, vcc
	s_branch .LBB99_9
.LBB99_8:                               ;   in Loop: Header=BB99_9 Depth=1
	s_or_b64 exec, exec, s[2:3]
	s_add_i32 s23, s23, 32
	s_cmp_lt_i32 s23, s22
	s_cbranch_scc0 .LBB99_30
.LBB99_9:                               ; =>This Loop Header: Depth=1
                                        ;     Child Loop BB99_12 Depth 2
                                        ;       Child Loop BB99_16 Depth 3
	v_or_b32_e32 v4, s23, v12
	v_ashrrev_i32_e32 v5, 31, v4
	v_mov_b32_e32 v23, 0
	s_and_saveexec_b64 s[12:13], s[0:1]
	s_cbranch_execz .LBB99_18
; %bb.10:                               ;   in Loop: Header=BB99_9 Depth=1
	v_mov_b32_e32 v7, s15
	v_add_co_u32_e64 v6, s[2:3], s14, v4
	v_mov_b32_e32 v9, v1
	v_cmp_gt_i32_e32 vcc, s22, v4
	v_addc_co_u32_e64 v7, s[2:3], v7, v5, s[2:3]
	v_mov_b32_e32 v23, 0
	s_mov_b64 s[18:19], 0
	v_mov_b32_e32 v8, v0
	s_branch .LBB99_12
.LBB99_11:                              ;   in Loop: Header=BB99_12 Depth=2
	s_or_b64 exec, exec, s[2:3]
	v_add_co_u32_e64 v8, s[2:3], 32, v8
	v_addc_co_u32_e64 v9, s[2:3], 0, v9, s[2:3]
	v_cmp_ge_i64_e64 s[2:3], v[8:9], v[2:3]
	s_or_b64 s[18:19], s[2:3], s[18:19]
	s_andn2_b64 exec, exec, s[18:19]
	s_cbranch_execz .LBB99_17
.LBB99_12:                              ;   Parent Loop BB99_9 Depth=1
                                        ; =>  This Loop Header: Depth=2
                                        ;       Child Loop BB99_16 Depth 3
	v_add_co_u32_e64 v10, s[2:3], v8, v12
	v_addc_co_u32_e64 v11, s[2:3], 0, v9, s[2:3]
	v_cmp_lt_i64_e64 s[2:3], v[10:11], v[2:3]
	v_mov_b32_e32 v26, 0
	v_mov_b32_e32 v24, 0
	v_mov_b32_e32 v25, 0
	s_and_saveexec_b64 s[20:21], s[2:3]
	s_cbranch_execz .LBB99_14
; %bb.13:                               ;   in Loop: Header=BB99_12 Depth=2
	v_lshlrev_b64 v[10:11], 2, v[10:11]
	v_mov_b32_e32 v25, s11
	v_add_co_u32_e64 v24, s[2:3], s10, v10
	v_addc_co_u32_e64 v25, s[2:3], v25, v11, s[2:3]
	v_add_co_u32_e64 v10, s[2:3], v18, v10
	global_load_dword v28, v[24:25], off
	v_addc_co_u32_e64 v11, s[2:3], v19, v11, s[2:3]
	v_add_co_u32_e64 v26, s[2:3], s16, v10
	v_addc_co_u32_e64 v27, s[2:3], 0, v11, s[2:3]
	global_load_ubyte v24, v[10:11], off
	global_load_ubyte v25, v[26:27], off
	s_waitcnt vmcnt(2)
	v_subrev_u32_e32 v10, s17, v28
	v_lshlrev_b32_e32 v26, 1, v10
.LBB99_14:                              ;   in Loop: Header=BB99_12 Depth=2
	s_or_b64 exec, exec, s[20:21]
	ds_write_b32 v14, v26
	s_waitcnt vmcnt(1)
	ds_write_b8 v22, v24
	s_waitcnt vmcnt(0)
	ds_write_b8 v22, v25 offset:1
	s_waitcnt lgkmcnt(0)
	; wave barrier
	s_and_saveexec_b64 s[2:3], vcc
	s_cbranch_execz .LBB99_11
; %bb.15:                               ;   in Loop: Header=BB99_12 Depth=2
	s_mov_b32 s20, 0
	v_mov_b32_e32 v10, v15
.LBB99_16:                              ;   Parent Loop BB99_9 Depth=1
                                        ;     Parent Loop BB99_12 Depth=2
                                        ; =>    This Inner Loop Header: Depth=3
	v_add_u32_e32 v11, s20, v13
	ds_read_b64 v[24:25], v11
	s_add_i32 s20, s20, 8
	s_cmpk_lg_i32 s20, 0x80
	s_waitcnt lgkmcnt(0)
	v_ashrrev_i32_e32 v11, 31, v24
	v_mul_lo_u32 v11, s6, v11
	v_mul_lo_u32 v28, s7, v24
	v_mad_u64_u32 v[26:27], s[24:25], s6, v24, v[6:7]
	v_add3_u32 v27, v28, v27, v11
	global_load_sbyte v11, v[26:27], off
	ds_read_u16 v26, v10
	ds_read_i8 v28, v10 offset:3
	ds_read_i8 v29, v10 offset:4
	v_add_u32_e32 v10, 6, v10
	s_waitcnt lgkmcnt(2)
	v_bfe_i32 v27, v26, 0, 8
	v_ashrrev_i16_e32 v30, 8, v26
	v_cvt_f32_i32_sdwa v26, sext(v27) dst_sel:DWORD dst_unused:UNUSED_PAD src0_sel:WORD_0
	s_waitcnt vmcnt(0)
	v_cvt_f32_i32_e32 v11, v11
	v_fmac_f32_e32 v23, v26, v11
	v_add_u32_e32 v11, 1, v24
	v_ashrrev_i32_e32 v24, 31, v11
	v_mul_lo_u32 v24, s6, v24
	v_mul_lo_u32 v31, s7, v11
	v_mad_u64_u32 v[26:27], s[24:25], s6, v11, v[6:7]
	v_add3_u32 v27, v31, v27, v24
	global_load_sbyte v11, v[26:27], off
	v_cvt_f32_i32_sdwa v24, sext(v30) dst_sel:DWORD dst_unused:UNUSED_PAD src0_sel:WORD_0
	v_mad_u64_u32 v[26:27], s[24:25], s6, v25, v[6:7]
	s_waitcnt vmcnt(0)
	v_cvt_f32_i32_e32 v11, v11
	v_fmac_f32_e32 v23, v24, v11
	v_ashrrev_i32_e32 v11, 31, v25
	v_mul_lo_u32 v11, s6, v11
	v_mul_lo_u32 v24, s7, v25
	v_add3_u32 v27, v24, v27, v11
	global_load_sbyte v11, v[26:27], off
	s_waitcnt lgkmcnt(1)
	v_cvt_f32_i32_e32 v24, v28
	s_waitcnt vmcnt(0)
	v_cvt_f32_i32_e32 v11, v11
	v_fmac_f32_e32 v23, v24, v11
	v_add_u32_e32 v11, 1, v25
	v_ashrrev_i32_e32 v24, 31, v11
	v_mul_lo_u32 v26, s6, v24
	v_mul_lo_u32 v27, s7, v11
	v_mad_u64_u32 v[24:25], s[24:25], s6, v11, v[6:7]
	v_add3_u32 v25, v27, v25, v26
	global_load_sbyte v11, v[24:25], off
	s_waitcnt lgkmcnt(0)
	v_cvt_f32_i32_e32 v24, v29
	s_waitcnt vmcnt(0)
	v_cvt_f32_i32_e32 v11, v11
	v_fmac_f32_e32 v23, v24, v11
	s_cbranch_scc1 .LBB99_16
	s_branch .LBB99_11
.LBB99_17:                              ;   in Loop: Header=BB99_9 Depth=1
	s_or_b64 exec, exec, s[18:19]
.LBB99_18:                              ;   in Loop: Header=BB99_9 Depth=1
	s_or_b64 exec, exec, s[12:13]
	v_cmp_gt_i32_e32 vcc, s22, v4
	s_and_saveexec_b64 s[2:3], vcc
	s_cbranch_execz .LBB99_8
; %bb.19:                               ;   in Loop: Header=BB99_9 Depth=1
	s_mov_b64 s[12:13], -1
	s_and_b64 vcc, exec, s[4:5]
	s_cbranch_vccz .LBB99_25
; %bb.20:                               ;   in Loop: Header=BB99_9 Depth=1
	s_and_b64 vcc, exec, s[8:9]
	s_cbranch_vccz .LBB99_22
; %bb.21:                               ;   in Loop: Header=BB99_9 Depth=1
	v_lshlrev_b64 v[6:7], 2, v[4:5]
	v_mul_f32_e32 v9, s28, v23
	v_add_co_u32_e32 v6, vcc, v20, v6
	v_addc_co_u32_e32 v7, vcc, v21, v7, vcc
	global_load_dword v8, v[6:7], off
	s_mov_b64 s[12:13], 0
	s_waitcnt vmcnt(0)
	v_fmac_f32_e32 v9, s30, v8
	global_store_dword v[6:7], v9, off
.LBB99_22:                              ;   in Loop: Header=BB99_9 Depth=1
	s_andn2_b64 vcc, exec, s[12:13]
	s_cbranch_vccnz .LBB99_24
; %bb.23:                               ;   in Loop: Header=BB99_9 Depth=1
	v_mul_lo_u32 v8, s27, v4
	v_mul_lo_u32 v9, s26, v5
	v_mad_u64_u32 v[6:7], s[12:13], s26, v4, 0
	v_add3_u32 v7, v7, v9, v8
	v_lshlrev_b64 v[6:7], 2, v[6:7]
	v_mul_f32_e32 v9, s28, v23
	v_add_co_u32_e32 v6, vcc, v16, v6
	v_addc_co_u32_e32 v7, vcc, v17, v7, vcc
	global_load_dword v8, v[6:7], off
	s_waitcnt vmcnt(0)
	v_fmac_f32_e32 v9, s30, v8
	global_store_dword v[6:7], v9, off
.LBB99_24:                              ;   in Loop: Header=BB99_9 Depth=1
	s_mov_b64 s[12:13], 0
.LBB99_25:                              ;   in Loop: Header=BB99_9 Depth=1
	s_andn2_b64 vcc, exec, s[12:13]
	s_cbranch_vccnz .LBB99_8
; %bb.26:                               ;   in Loop: Header=BB99_9 Depth=1
	v_mul_f32_e32 v6, s28, v23
	s_mov_b64 s[12:13], -1
	s_and_b64 vcc, exec, s[8:9]
	s_cbranch_vccz .LBB99_28
; %bb.27:                               ;   in Loop: Header=BB99_9 Depth=1
	v_lshlrev_b64 v[7:8], 2, v[4:5]
	s_mov_b64 s[12:13], 0
	v_add_co_u32_e32 v7, vcc, v20, v7
	v_addc_co_u32_e32 v8, vcc, v21, v8, vcc
	global_store_dword v[7:8], v6, off
.LBB99_28:                              ;   in Loop: Header=BB99_9 Depth=1
	s_andn2_b64 vcc, exec, s[12:13]
	s_cbranch_vccnz .LBB99_8
; %bb.29:                               ;   in Loop: Header=BB99_9 Depth=1
	v_mul_lo_u32 v7, s27, v4
	v_mul_lo_u32 v8, s26, v5
	v_mad_u64_u32 v[4:5], s[12:13], s26, v4, 0
	v_add3_u32 v5, v5, v8, v7
	v_lshlrev_b64 v[4:5], 2, v[4:5]
	v_add_co_u32_e32 v4, vcc, v16, v4
	v_addc_co_u32_e32 v5, vcc, v17, v5, vcc
	global_store_dword v[4:5], v6, off
	s_branch .LBB99_8
.LBB99_30:
	s_endpgm
	.section	.rodata,"a",@progbits
	.p2align	6, 0x0
	.amdhsa_kernel _ZN9rocsparseL29bsrmmnt_small_blockdim_kernelILj64ELj32ELj2EliaaffEEv20rocsparse_direction_T3_S2_llNS_24const_host_device_scalarIT7_EEPKT2_PKS2_PKT4_PKT5_llS5_PT6_ll16rocsparse_order_21rocsparse_index_base_b
		.amdhsa_group_segment_fixed_size 448
		.amdhsa_private_segment_fixed_size 0
		.amdhsa_kernarg_size 392
		.amdhsa_user_sgpr_count 6
		.amdhsa_user_sgpr_private_segment_buffer 1
		.amdhsa_user_sgpr_dispatch_ptr 0
		.amdhsa_user_sgpr_queue_ptr 0
		.amdhsa_user_sgpr_kernarg_segment_ptr 1
		.amdhsa_user_sgpr_dispatch_id 0
		.amdhsa_user_sgpr_flat_scratch_init 0
		.amdhsa_user_sgpr_private_segment_size 0
		.amdhsa_uses_dynamic_stack 0
		.amdhsa_system_sgpr_private_segment_wavefront_offset 0
		.amdhsa_system_sgpr_workgroup_id_x 1
		.amdhsa_system_sgpr_workgroup_id_y 0
		.amdhsa_system_sgpr_workgroup_id_z 0
		.amdhsa_system_sgpr_workgroup_info 0
		.amdhsa_system_vgpr_workitem_id 0
		.amdhsa_next_free_vgpr 32
		.amdhsa_next_free_sgpr 32
		.amdhsa_reserve_vcc 1
		.amdhsa_reserve_flat_scratch 0
		.amdhsa_float_round_mode_32 0
		.amdhsa_float_round_mode_16_64 0
		.amdhsa_float_denorm_mode_32 3
		.amdhsa_float_denorm_mode_16_64 3
		.amdhsa_dx10_clamp 1
		.amdhsa_ieee_mode 1
		.amdhsa_fp16_overflow 0
		.amdhsa_exception_fp_ieee_invalid_op 0
		.amdhsa_exception_fp_denorm_src 0
		.amdhsa_exception_fp_ieee_div_zero 0
		.amdhsa_exception_fp_ieee_overflow 0
		.amdhsa_exception_fp_ieee_underflow 0
		.amdhsa_exception_fp_ieee_inexact 0
		.amdhsa_exception_int_div_zero 0
	.end_amdhsa_kernel
	.section	.text._ZN9rocsparseL29bsrmmnt_small_blockdim_kernelILj64ELj32ELj2EliaaffEEv20rocsparse_direction_T3_S2_llNS_24const_host_device_scalarIT7_EEPKT2_PKS2_PKT4_PKT5_llS5_PT6_ll16rocsparse_order_21rocsparse_index_base_b,"axG",@progbits,_ZN9rocsparseL29bsrmmnt_small_blockdim_kernelILj64ELj32ELj2EliaaffEEv20rocsparse_direction_T3_S2_llNS_24const_host_device_scalarIT7_EEPKT2_PKS2_PKT4_PKT5_llS5_PT6_ll16rocsparse_order_21rocsparse_index_base_b,comdat
.Lfunc_end99:
	.size	_ZN9rocsparseL29bsrmmnt_small_blockdim_kernelILj64ELj32ELj2EliaaffEEv20rocsparse_direction_T3_S2_llNS_24const_host_device_scalarIT7_EEPKT2_PKS2_PKT4_PKT5_llS5_PT6_ll16rocsparse_order_21rocsparse_index_base_b, .Lfunc_end99-_ZN9rocsparseL29bsrmmnt_small_blockdim_kernelILj64ELj32ELj2EliaaffEEv20rocsparse_direction_T3_S2_llNS_24const_host_device_scalarIT7_EEPKT2_PKS2_PKT4_PKT5_llS5_PT6_ll16rocsparse_order_21rocsparse_index_base_b
                                        ; -- End function
	.set _ZN9rocsparseL29bsrmmnt_small_blockdim_kernelILj64ELj32ELj2EliaaffEEv20rocsparse_direction_T3_S2_llNS_24const_host_device_scalarIT7_EEPKT2_PKS2_PKT4_PKT5_llS5_PT6_ll16rocsparse_order_21rocsparse_index_base_b.num_vgpr, 32
	.set _ZN9rocsparseL29bsrmmnt_small_blockdim_kernelILj64ELj32ELj2EliaaffEEv20rocsparse_direction_T3_S2_llNS_24const_host_device_scalarIT7_EEPKT2_PKS2_PKT4_PKT5_llS5_PT6_ll16rocsparse_order_21rocsparse_index_base_b.num_agpr, 0
	.set _ZN9rocsparseL29bsrmmnt_small_blockdim_kernelILj64ELj32ELj2EliaaffEEv20rocsparse_direction_T3_S2_llNS_24const_host_device_scalarIT7_EEPKT2_PKS2_PKT4_PKT5_llS5_PT6_ll16rocsparse_order_21rocsparse_index_base_b.numbered_sgpr, 32
	.set _ZN9rocsparseL29bsrmmnt_small_blockdim_kernelILj64ELj32ELj2EliaaffEEv20rocsparse_direction_T3_S2_llNS_24const_host_device_scalarIT7_EEPKT2_PKS2_PKT4_PKT5_llS5_PT6_ll16rocsparse_order_21rocsparse_index_base_b.num_named_barrier, 0
	.set _ZN9rocsparseL29bsrmmnt_small_blockdim_kernelILj64ELj32ELj2EliaaffEEv20rocsparse_direction_T3_S2_llNS_24const_host_device_scalarIT7_EEPKT2_PKS2_PKT4_PKT5_llS5_PT6_ll16rocsparse_order_21rocsparse_index_base_b.private_seg_size, 0
	.set _ZN9rocsparseL29bsrmmnt_small_blockdim_kernelILj64ELj32ELj2EliaaffEEv20rocsparse_direction_T3_S2_llNS_24const_host_device_scalarIT7_EEPKT2_PKS2_PKT4_PKT5_llS5_PT6_ll16rocsparse_order_21rocsparse_index_base_b.uses_vcc, 1
	.set _ZN9rocsparseL29bsrmmnt_small_blockdim_kernelILj64ELj32ELj2EliaaffEEv20rocsparse_direction_T3_S2_llNS_24const_host_device_scalarIT7_EEPKT2_PKS2_PKT4_PKT5_llS5_PT6_ll16rocsparse_order_21rocsparse_index_base_b.uses_flat_scratch, 0
	.set _ZN9rocsparseL29bsrmmnt_small_blockdim_kernelILj64ELj32ELj2EliaaffEEv20rocsparse_direction_T3_S2_llNS_24const_host_device_scalarIT7_EEPKT2_PKS2_PKT4_PKT5_llS5_PT6_ll16rocsparse_order_21rocsparse_index_base_b.has_dyn_sized_stack, 0
	.set _ZN9rocsparseL29bsrmmnt_small_blockdim_kernelILj64ELj32ELj2EliaaffEEv20rocsparse_direction_T3_S2_llNS_24const_host_device_scalarIT7_EEPKT2_PKS2_PKT4_PKT5_llS5_PT6_ll16rocsparse_order_21rocsparse_index_base_b.has_recursion, 0
	.set _ZN9rocsparseL29bsrmmnt_small_blockdim_kernelILj64ELj32ELj2EliaaffEEv20rocsparse_direction_T3_S2_llNS_24const_host_device_scalarIT7_EEPKT2_PKS2_PKT4_PKT5_llS5_PT6_ll16rocsparse_order_21rocsparse_index_base_b.has_indirect_call, 0
	.section	.AMDGPU.csdata,"",@progbits
; Kernel info:
; codeLenInByte = 1364
; TotalNumSgprs: 36
; NumVgprs: 32
; ScratchSize: 0
; MemoryBound: 0
; FloatMode: 240
; IeeeMode: 1
; LDSByteSize: 448 bytes/workgroup (compile time only)
; SGPRBlocks: 4
; VGPRBlocks: 7
; NumSGPRsForWavesPerEU: 36
; NumVGPRsForWavesPerEU: 32
; Occupancy: 8
; WaveLimiterHint : 0
; COMPUTE_PGM_RSRC2:SCRATCH_EN: 0
; COMPUTE_PGM_RSRC2:USER_SGPR: 6
; COMPUTE_PGM_RSRC2:TRAP_HANDLER: 0
; COMPUTE_PGM_RSRC2:TGID_X_EN: 1
; COMPUTE_PGM_RSRC2:TGID_Y_EN: 0
; COMPUTE_PGM_RSRC2:TGID_Z_EN: 0
; COMPUTE_PGM_RSRC2:TIDIG_COMP_CNT: 0
	.section	.text._ZN9rocsparseL29bsrmmnt_small_blockdim_kernelILj64ELj64ELj2EliaaffEEv20rocsparse_direction_T3_S2_llNS_24const_host_device_scalarIT7_EEPKT2_PKS2_PKT4_PKT5_llS5_PT6_ll16rocsparse_order_21rocsparse_index_base_b,"axG",@progbits,_ZN9rocsparseL29bsrmmnt_small_blockdim_kernelILj64ELj64ELj2EliaaffEEv20rocsparse_direction_T3_S2_llNS_24const_host_device_scalarIT7_EEPKT2_PKS2_PKT4_PKT5_llS5_PT6_ll16rocsparse_order_21rocsparse_index_base_b,comdat
	.globl	_ZN9rocsparseL29bsrmmnt_small_blockdim_kernelILj64ELj64ELj2EliaaffEEv20rocsparse_direction_T3_S2_llNS_24const_host_device_scalarIT7_EEPKT2_PKS2_PKT4_PKT5_llS5_PT6_ll16rocsparse_order_21rocsparse_index_base_b ; -- Begin function _ZN9rocsparseL29bsrmmnt_small_blockdim_kernelILj64ELj64ELj2EliaaffEEv20rocsparse_direction_T3_S2_llNS_24const_host_device_scalarIT7_EEPKT2_PKS2_PKT4_PKT5_llS5_PT6_ll16rocsparse_order_21rocsparse_index_base_b
	.p2align	8
	.type	_ZN9rocsparseL29bsrmmnt_small_blockdim_kernelILj64ELj64ELj2EliaaffEEv20rocsparse_direction_T3_S2_llNS_24const_host_device_scalarIT7_EEPKT2_PKS2_PKT4_PKT5_llS5_PT6_ll16rocsparse_order_21rocsparse_index_base_b,@function
_ZN9rocsparseL29bsrmmnt_small_blockdim_kernelILj64ELj64ELj2EliaaffEEv20rocsparse_direction_T3_S2_llNS_24const_host_device_scalarIT7_EEPKT2_PKS2_PKT4_PKT5_llS5_PT6_ll16rocsparse_order_21rocsparse_index_base_b: ; @_ZN9rocsparseL29bsrmmnt_small_blockdim_kernelILj64ELj64ELj2EliaaffEEv20rocsparse_direction_T3_S2_llNS_24const_host_device_scalarIT7_EEPKT2_PKS2_PKT4_PKT5_llS5_PT6_ll16rocsparse_order_21rocsparse_index_base_b
; %bb.0:
	s_load_dwordx4 s[16:19], s[4:5], 0x78
	s_load_dwordx2 s[28:29], s[4:5], 0x20
	s_load_dwordx2 s[30:31], s[4:5], 0x58
	s_waitcnt lgkmcnt(0)
	s_bitcmp1_b32 s18, 0
	s_cselect_b64 s[2:3], -1, 0
	s_xor_b64 s[0:1], s[2:3], -1
	s_and_b64 vcc, exec, s[2:3]
	s_cbranch_vccnz .LBB100_2
; %bb.1:
	s_load_dword s28, s[28:29], 0x0
.LBB100_2:
	s_andn2_b64 vcc, exec, s[0:1]
	s_cbranch_vccnz .LBB100_4
; %bb.3:
	s_load_dword s30, s[30:31], 0x0
.LBB100_4:
	s_waitcnt lgkmcnt(0)
	v_cmp_eq_f32_e64 s[0:1], s28, 0
	v_cmp_eq_f32_e64 s[2:3], s30, 1.0
	s_and_b64 s[0:1], s[0:1], s[2:3]
	s_and_b64 vcc, exec, s[0:1]
	s_cbranch_vccnz .LBB100_30
; %bb.5:
	s_load_dword s0, s[4:5], 0x94
	s_load_dwordx4 s[20:23], s[4:5], 0x0
	s_waitcnt lgkmcnt(0)
	s_and_b32 s0, s0, 0xffff
	s_mul_i32 s6, s6, s0
	v_add_u32_e32 v1, s6, v0
	v_lshrrev_b32_e32 v2, 7, v1
	v_cmp_gt_i32_e32 vcc, s21, v2
	s_and_saveexec_b64 s[0:1], vcc
	s_cbranch_execz .LBB100_30
; %bb.6:
	s_cmp_lt_i32 s22, 1
	s_cbranch_scc1 .LBB100_30
; %bb.7:
	s_load_dwordx8 s[8:15], s[4:5], 0x28
	v_lshlrev_b32_e32 v2, 3, v2
	s_cmp_lg_u32 s16, 1
	v_lshrrev_b32_e32 v3, 6, v1
	v_bfe_u32 v1, v1, 6, 1
	s_waitcnt lgkmcnt(0)
	global_load_dwordx4 v[5:8], v2, s[8:9]
	s_load_dwordx4 s[24:27], s[4:5], 0x60
	s_load_dwordx2 s[6:7], s[4:5], 0x48
	s_cselect_b64 s[8:9], -1, 0
	s_cmp_eq_u32 s20, 0
	s_cselect_b64 s[0:1], -1, 0
	v_cndmask_b32_e64 v2, 0, 1, s[0:1]
	v_lshlrev_b32_e32 v10, v2, v1
	s_and_b64 s[0:1], s[0:1], exec
	s_waitcnt lgkmcnt(0)
	v_mad_u64_u32 v[1:2], s[0:1], s26, v3, 0
	v_lshlrev_b32_e32 v4, 2, v3
	v_mov_b32_e32 v12, s25
	v_mad_u64_u32 v[2:3], s[0:1], s27, v3, v[2:3]
	v_add_co_u32_e32 v14, vcc, s24, v4
	v_addc_co_u32_e32 v15, vcc, 0, v12, vcc
	v_mov_b32_e32 v17, s13
	v_add_co_u32_e32 v16, vcc, s12, v10
	v_lshlrev_b64 v[1:2], 2, v[1:2]
	v_addc_co_u32_e32 v17, vcc, 0, v17, vcc
	v_mov_b32_e32 v11, s25
	v_add_co_u32_e32 v18, vcc, s24, v1
	v_addc_co_u32_e32 v19, vcc, v11, v2, vcc
	v_mul_u32_u24_e32 v9, 3, v0
	s_mov_b32 s23, 0
	v_lshlrev_b32_e32 v13, 2, v0
	v_cmp_neq_f32_e64 s[4:5], s30, 0
	s_cselect_b32 s16, 1, 2
	v_add_u32_e32 v20, 0x100, v9
	s_waitcnt vmcnt(0)
	v_subrev_co_u32_e32 v1, vcc, s17, v5
	v_subbrev_co_u32_e32 v2, vcc, 0, v6, vcc
	v_subrev_co_u32_e32 v3, vcc, s17, v7
	v_cmp_lt_i64_e64 s[0:1], v[5:6], v[7:8]
	v_subbrev_co_u32_e32 v4, vcc, 0, v8, vcc
	s_branch .LBB100_9
.LBB100_8:                              ;   in Loop: Header=BB100_9 Depth=1
	s_or_b64 exec, exec, s[2:3]
	s_add_i32 s23, s23, 64
	s_cmp_lt_i32 s23, s22
	s_cbranch_scc0 .LBB100_30
.LBB100_9:                              ; =>This Loop Header: Depth=1
                                        ;     Child Loop BB100_12 Depth 2
                                        ;       Child Loop BB100_16 Depth 3
	v_or_b32_e32 v5, s23, v0
	v_ashrrev_i32_e32 v6, 31, v5
	v_mov_b32_e32 v21, 0
	s_and_saveexec_b64 s[12:13], s[0:1]
	s_cbranch_execz .LBB100_18
; %bb.10:                               ;   in Loop: Header=BB100_9 Depth=1
	v_mov_b32_e32 v8, s15
	v_add_co_u32_e64 v7, s[2:3], s14, v5
	v_mov_b32_e32 v10, v2
	v_cmp_gt_i32_e32 vcc, s22, v5
	v_addc_co_u32_e64 v8, s[2:3], v8, v6, s[2:3]
	v_mov_b32_e32 v21, 0
	s_mov_b64 s[18:19], 0
	v_mov_b32_e32 v9, v1
	s_branch .LBB100_12
.LBB100_11:                             ;   in Loop: Header=BB100_12 Depth=2
	s_or_b64 exec, exec, s[2:3]
	v_add_co_u32_e64 v9, s[2:3], 64, v9
	v_addc_co_u32_e64 v10, s[2:3], 0, v10, s[2:3]
	v_cmp_ge_i64_e64 s[2:3], v[9:10], v[3:4]
	s_or_b64 s[18:19], s[2:3], s[18:19]
	s_andn2_b64 exec, exec, s[18:19]
	s_cbranch_execz .LBB100_17
.LBB100_12:                             ;   Parent Loop BB100_9 Depth=1
                                        ; =>  This Loop Header: Depth=2
                                        ;       Child Loop BB100_16 Depth 3
	v_add_co_u32_e64 v11, s[2:3], v9, v0
	v_addc_co_u32_e64 v12, s[2:3], 0, v10, s[2:3]
	v_cmp_lt_i64_e64 s[2:3], v[11:12], v[3:4]
	v_mov_b32_e32 v24, 0
	v_mov_b32_e32 v22, 0
	;; [unrolled: 1-line block ×3, first 2 shown]
	s_and_saveexec_b64 s[20:21], s[2:3]
	s_cbranch_execz .LBB100_14
; %bb.13:                               ;   in Loop: Header=BB100_12 Depth=2
	v_lshlrev_b64 v[11:12], 2, v[11:12]
	v_mov_b32_e32 v23, s11
	v_add_co_u32_e64 v22, s[2:3], s10, v11
	v_addc_co_u32_e64 v23, s[2:3], v23, v12, s[2:3]
	v_add_co_u32_e64 v11, s[2:3], v16, v11
	global_load_dword v26, v[22:23], off
	v_addc_co_u32_e64 v12, s[2:3], v17, v12, s[2:3]
	v_add_co_u32_e64 v24, s[2:3], s16, v11
	v_addc_co_u32_e64 v25, s[2:3], 0, v12, s[2:3]
	global_load_ubyte v22, v[11:12], off
	global_load_ubyte v23, v[24:25], off
	s_waitcnt vmcnt(2)
	v_subrev_u32_e32 v11, s17, v26
	v_lshlrev_b32_e32 v24, 1, v11
.LBB100_14:                             ;   in Loop: Header=BB100_12 Depth=2
	s_or_b64 exec, exec, s[20:21]
	ds_write_b32 v13, v24
	s_waitcnt vmcnt(1)
	ds_write_b8 v20, v22
	s_waitcnt vmcnt(0)
	ds_write_b8 v20, v23 offset:1
	s_waitcnt lgkmcnt(0)
	; wave barrier
	s_and_saveexec_b64 s[2:3], vcc
	s_cbranch_execz .LBB100_11
; %bb.15:                               ;   in Loop: Header=BB100_12 Depth=2
	s_mov_b32 s20, 0
	v_mov_b32_e32 v11, 0x100
.LBB100_16:                             ;   Parent Loop BB100_9 Depth=1
                                        ;     Parent Loop BB100_12 Depth=2
                                        ; =>    This Inner Loop Header: Depth=3
	v_mov_b32_e32 v12, s20
	ds_read_b64 v[22:23], v12
	s_add_i32 s20, s20, 8
	s_waitcnt lgkmcnt(0)
	v_readfirstlane_b32 s21, v22
	s_ashr_i32 s24, s21, 31
	s_mul_i32 s25, s7, s21
	s_mul_i32 s24, s6, s24
	v_mov_b32_e32 v12, s21
	v_readfirstlane_b32 s29, v23
	s_add_i32 s31, s24, s25
	v_mad_u64_u32 v[22:23], s[24:25], s6, v12, v[7:8]
	s_add_i32 s21, s21, 1
	s_ashr_i32 s24, s21, 31
	v_add_u32_e32 v23, s31, v23
	global_load_sbyte v12, v[22:23], off
	ds_read_u16 v22, v11
	ds_read_i8 v24, v11 offset:3
	ds_read_i8 v25, v11 offset:4
	s_mul_i32 s24, s6, s24
	s_mul_i32 s25, s7, s21
	s_waitcnt lgkmcnt(2)
	v_bfe_i32 v23, v22, 0, 8
	v_ashrrev_i16_e32 v26, 8, v22
	v_cvt_f32_i32_sdwa v22, sext(v23) dst_sel:DWORD dst_unused:UNUSED_PAD src0_sel:WORD_0
	s_add_i32 s31, s24, s25
	v_add_u32_e32 v11, 6, v11
	s_waitcnt vmcnt(0)
	v_cvt_f32_i32_e32 v12, v12
	v_fmac_f32_e32 v21, v22, v12
	v_mov_b32_e32 v12, s21
	v_mad_u64_u32 v[22:23], s[24:25], s6, v12, v[7:8]
	s_ashr_i32 s21, s29, 31
	s_mul_i32 s24, s7, s29
	v_add_u32_e32 v23, s31, v23
	global_load_sbyte v12, v[22:23], off
	v_cvt_f32_i32_sdwa v22, sext(v26) dst_sel:DWORD dst_unused:UNUSED_PAD src0_sel:WORD_0
	s_mul_i32 s21, s6, s21
	s_add_i32 s21, s21, s24
	s_waitcnt vmcnt(0)
	v_cvt_f32_i32_e32 v12, v12
	v_fmac_f32_e32 v21, v22, v12
	v_mov_b32_e32 v12, s29
	v_mad_u64_u32 v[22:23], s[24:25], s6, v12, v[7:8]
	v_add_u32_e32 v23, s21, v23
	global_load_sbyte v12, v[22:23], off
	s_waitcnt lgkmcnt(1)
	v_cvt_f32_i32_e32 v22, v24
	s_add_i32 s21, s29, 1
	s_ashr_i32 s24, s21, 31
	s_mul_i32 s24, s6, s24
	s_mul_i32 s25, s7, s21
	s_add_i32 s29, s24, s25
	s_cmpk_lg_i32 s20, 0x100
	s_waitcnt vmcnt(0)
	v_cvt_f32_i32_e32 v12, v12
	v_fmac_f32_e32 v21, v22, v12
	v_mov_b32_e32 v12, s21
	v_mad_u64_u32 v[22:23], s[24:25], s6, v12, v[7:8]
	v_add_u32_e32 v23, s29, v23
	global_load_sbyte v12, v[22:23], off
	s_waitcnt lgkmcnt(0)
	v_cvt_f32_i32_e32 v22, v25
	s_waitcnt vmcnt(0)
	v_cvt_f32_i32_e32 v12, v12
	v_fmac_f32_e32 v21, v22, v12
	s_cbranch_scc1 .LBB100_16
	s_branch .LBB100_11
.LBB100_17:                             ;   in Loop: Header=BB100_9 Depth=1
	s_or_b64 exec, exec, s[18:19]
.LBB100_18:                             ;   in Loop: Header=BB100_9 Depth=1
	s_or_b64 exec, exec, s[12:13]
	v_cmp_gt_i32_e32 vcc, s22, v5
	s_and_saveexec_b64 s[2:3], vcc
	s_cbranch_execz .LBB100_8
; %bb.19:                               ;   in Loop: Header=BB100_9 Depth=1
	s_mov_b64 s[12:13], -1
	s_and_b64 vcc, exec, s[4:5]
	s_cbranch_vccz .LBB100_25
; %bb.20:                               ;   in Loop: Header=BB100_9 Depth=1
	s_and_b64 vcc, exec, s[8:9]
	s_cbranch_vccz .LBB100_22
; %bb.21:                               ;   in Loop: Header=BB100_9 Depth=1
	v_lshlrev_b64 v[7:8], 2, v[5:6]
	v_mul_f32_e32 v10, s28, v21
	v_add_co_u32_e32 v7, vcc, v18, v7
	v_addc_co_u32_e32 v8, vcc, v19, v8, vcc
	global_load_dword v9, v[7:8], off
	s_mov_b64 s[12:13], 0
	s_waitcnt vmcnt(0)
	v_fmac_f32_e32 v10, s30, v9
	global_store_dword v[7:8], v10, off
.LBB100_22:                             ;   in Loop: Header=BB100_9 Depth=1
	s_andn2_b64 vcc, exec, s[12:13]
	s_cbranch_vccnz .LBB100_24
; %bb.23:                               ;   in Loop: Header=BB100_9 Depth=1
	v_mul_lo_u32 v9, s27, v5
	v_mul_lo_u32 v10, s26, v6
	v_mad_u64_u32 v[7:8], s[12:13], s26, v5, 0
	v_add3_u32 v8, v8, v10, v9
	v_lshlrev_b64 v[7:8], 2, v[7:8]
	v_mul_f32_e32 v10, s28, v21
	v_add_co_u32_e32 v7, vcc, v14, v7
	v_addc_co_u32_e32 v8, vcc, v15, v8, vcc
	global_load_dword v9, v[7:8], off
	s_waitcnt vmcnt(0)
	v_fmac_f32_e32 v10, s30, v9
	global_store_dword v[7:8], v10, off
.LBB100_24:                             ;   in Loop: Header=BB100_9 Depth=1
	s_mov_b64 s[12:13], 0
.LBB100_25:                             ;   in Loop: Header=BB100_9 Depth=1
	s_andn2_b64 vcc, exec, s[12:13]
	s_cbranch_vccnz .LBB100_8
; %bb.26:                               ;   in Loop: Header=BB100_9 Depth=1
	v_mul_f32_e32 v7, s28, v21
	s_mov_b64 s[12:13], -1
	s_and_b64 vcc, exec, s[8:9]
	s_cbranch_vccz .LBB100_28
; %bb.27:                               ;   in Loop: Header=BB100_9 Depth=1
	v_lshlrev_b64 v[8:9], 2, v[5:6]
	s_mov_b64 s[12:13], 0
	v_add_co_u32_e32 v8, vcc, v18, v8
	v_addc_co_u32_e32 v9, vcc, v19, v9, vcc
	global_store_dword v[8:9], v7, off
.LBB100_28:                             ;   in Loop: Header=BB100_9 Depth=1
	s_andn2_b64 vcc, exec, s[12:13]
	s_cbranch_vccnz .LBB100_8
; %bb.29:                               ;   in Loop: Header=BB100_9 Depth=1
	v_mul_lo_u32 v8, s27, v5
	v_mul_lo_u32 v9, s26, v6
	v_mad_u64_u32 v[5:6], s[12:13], s26, v5, 0
	v_add3_u32 v6, v6, v9, v8
	v_lshlrev_b64 v[5:6], 2, v[5:6]
	v_add_co_u32_e32 v5, vcc, v14, v5
	v_addc_co_u32_e32 v6, vcc, v15, v6, vcc
	global_store_dword v[5:6], v7, off
	s_branch .LBB100_8
.LBB100_30:
	s_endpgm
	.section	.rodata,"a",@progbits
	.p2align	6, 0x0
	.amdhsa_kernel _ZN9rocsparseL29bsrmmnt_small_blockdim_kernelILj64ELj64ELj2EliaaffEEv20rocsparse_direction_T3_S2_llNS_24const_host_device_scalarIT7_EEPKT2_PKS2_PKT4_PKT5_llS5_PT6_ll16rocsparse_order_21rocsparse_index_base_b
		.amdhsa_group_segment_fixed_size 448
		.amdhsa_private_segment_fixed_size 0
		.amdhsa_kernarg_size 392
		.amdhsa_user_sgpr_count 6
		.amdhsa_user_sgpr_private_segment_buffer 1
		.amdhsa_user_sgpr_dispatch_ptr 0
		.amdhsa_user_sgpr_queue_ptr 0
		.amdhsa_user_sgpr_kernarg_segment_ptr 1
		.amdhsa_user_sgpr_dispatch_id 0
		.amdhsa_user_sgpr_flat_scratch_init 0
		.amdhsa_user_sgpr_private_segment_size 0
		.amdhsa_uses_dynamic_stack 0
		.amdhsa_system_sgpr_private_segment_wavefront_offset 0
		.amdhsa_system_sgpr_workgroup_id_x 1
		.amdhsa_system_sgpr_workgroup_id_y 0
		.amdhsa_system_sgpr_workgroup_id_z 0
		.amdhsa_system_sgpr_workgroup_info 0
		.amdhsa_system_vgpr_workitem_id 0
		.amdhsa_next_free_vgpr 27
		.amdhsa_next_free_sgpr 32
		.amdhsa_reserve_vcc 1
		.amdhsa_reserve_flat_scratch 0
		.amdhsa_float_round_mode_32 0
		.amdhsa_float_round_mode_16_64 0
		.amdhsa_float_denorm_mode_32 3
		.amdhsa_float_denorm_mode_16_64 3
		.amdhsa_dx10_clamp 1
		.amdhsa_ieee_mode 1
		.amdhsa_fp16_overflow 0
		.amdhsa_exception_fp_ieee_invalid_op 0
		.amdhsa_exception_fp_denorm_src 0
		.amdhsa_exception_fp_ieee_div_zero 0
		.amdhsa_exception_fp_ieee_overflow 0
		.amdhsa_exception_fp_ieee_underflow 0
		.amdhsa_exception_fp_ieee_inexact 0
		.amdhsa_exception_int_div_zero 0
	.end_amdhsa_kernel
	.section	.text._ZN9rocsparseL29bsrmmnt_small_blockdim_kernelILj64ELj64ELj2EliaaffEEv20rocsparse_direction_T3_S2_llNS_24const_host_device_scalarIT7_EEPKT2_PKS2_PKT4_PKT5_llS5_PT6_ll16rocsparse_order_21rocsparse_index_base_b,"axG",@progbits,_ZN9rocsparseL29bsrmmnt_small_blockdim_kernelILj64ELj64ELj2EliaaffEEv20rocsparse_direction_T3_S2_llNS_24const_host_device_scalarIT7_EEPKT2_PKS2_PKT4_PKT5_llS5_PT6_ll16rocsparse_order_21rocsparse_index_base_b,comdat
.Lfunc_end100:
	.size	_ZN9rocsparseL29bsrmmnt_small_blockdim_kernelILj64ELj64ELj2EliaaffEEv20rocsparse_direction_T3_S2_llNS_24const_host_device_scalarIT7_EEPKT2_PKS2_PKT4_PKT5_llS5_PT6_ll16rocsparse_order_21rocsparse_index_base_b, .Lfunc_end100-_ZN9rocsparseL29bsrmmnt_small_blockdim_kernelILj64ELj64ELj2EliaaffEEv20rocsparse_direction_T3_S2_llNS_24const_host_device_scalarIT7_EEPKT2_PKS2_PKT4_PKT5_llS5_PT6_ll16rocsparse_order_21rocsparse_index_base_b
                                        ; -- End function
	.set _ZN9rocsparseL29bsrmmnt_small_blockdim_kernelILj64ELj64ELj2EliaaffEEv20rocsparse_direction_T3_S2_llNS_24const_host_device_scalarIT7_EEPKT2_PKS2_PKT4_PKT5_llS5_PT6_ll16rocsparse_order_21rocsparse_index_base_b.num_vgpr, 27
	.set _ZN9rocsparseL29bsrmmnt_small_blockdim_kernelILj64ELj64ELj2EliaaffEEv20rocsparse_direction_T3_S2_llNS_24const_host_device_scalarIT7_EEPKT2_PKS2_PKT4_PKT5_llS5_PT6_ll16rocsparse_order_21rocsparse_index_base_b.num_agpr, 0
	.set _ZN9rocsparseL29bsrmmnt_small_blockdim_kernelILj64ELj64ELj2EliaaffEEv20rocsparse_direction_T3_S2_llNS_24const_host_device_scalarIT7_EEPKT2_PKS2_PKT4_PKT5_llS5_PT6_ll16rocsparse_order_21rocsparse_index_base_b.numbered_sgpr, 32
	.set _ZN9rocsparseL29bsrmmnt_small_blockdim_kernelILj64ELj64ELj2EliaaffEEv20rocsparse_direction_T3_S2_llNS_24const_host_device_scalarIT7_EEPKT2_PKS2_PKT4_PKT5_llS5_PT6_ll16rocsparse_order_21rocsparse_index_base_b.num_named_barrier, 0
	.set _ZN9rocsparseL29bsrmmnt_small_blockdim_kernelILj64ELj64ELj2EliaaffEEv20rocsparse_direction_T3_S2_llNS_24const_host_device_scalarIT7_EEPKT2_PKS2_PKT4_PKT5_llS5_PT6_ll16rocsparse_order_21rocsparse_index_base_b.private_seg_size, 0
	.set _ZN9rocsparseL29bsrmmnt_small_blockdim_kernelILj64ELj64ELj2EliaaffEEv20rocsparse_direction_T3_S2_llNS_24const_host_device_scalarIT7_EEPKT2_PKS2_PKT4_PKT5_llS5_PT6_ll16rocsparse_order_21rocsparse_index_base_b.uses_vcc, 1
	.set _ZN9rocsparseL29bsrmmnt_small_blockdim_kernelILj64ELj64ELj2EliaaffEEv20rocsparse_direction_T3_S2_llNS_24const_host_device_scalarIT7_EEPKT2_PKS2_PKT4_PKT5_llS5_PT6_ll16rocsparse_order_21rocsparse_index_base_b.uses_flat_scratch, 0
	.set _ZN9rocsparseL29bsrmmnt_small_blockdim_kernelILj64ELj64ELj2EliaaffEEv20rocsparse_direction_T3_S2_llNS_24const_host_device_scalarIT7_EEPKT2_PKS2_PKT4_PKT5_llS5_PT6_ll16rocsparse_order_21rocsparse_index_base_b.has_dyn_sized_stack, 0
	.set _ZN9rocsparseL29bsrmmnt_small_blockdim_kernelILj64ELj64ELj2EliaaffEEv20rocsparse_direction_T3_S2_llNS_24const_host_device_scalarIT7_EEPKT2_PKS2_PKT4_PKT5_llS5_PT6_ll16rocsparse_order_21rocsparse_index_base_b.has_recursion, 0
	.set _ZN9rocsparseL29bsrmmnt_small_blockdim_kernelILj64ELj64ELj2EliaaffEEv20rocsparse_direction_T3_S2_llNS_24const_host_device_scalarIT7_EEPKT2_PKS2_PKT4_PKT5_llS5_PT6_ll16rocsparse_order_21rocsparse_index_base_b.has_indirect_call, 0
	.section	.AMDGPU.csdata,"",@progbits
; Kernel info:
; codeLenInByte = 1332
; TotalNumSgprs: 36
; NumVgprs: 27
; ScratchSize: 0
; MemoryBound: 0
; FloatMode: 240
; IeeeMode: 1
; LDSByteSize: 448 bytes/workgroup (compile time only)
; SGPRBlocks: 4
; VGPRBlocks: 6
; NumSGPRsForWavesPerEU: 36
; NumVGPRsForWavesPerEU: 27
; Occupancy: 9
; WaveLimiterHint : 0
; COMPUTE_PGM_RSRC2:SCRATCH_EN: 0
; COMPUTE_PGM_RSRC2:USER_SGPR: 6
; COMPUTE_PGM_RSRC2:TRAP_HANDLER: 0
; COMPUTE_PGM_RSRC2:TGID_X_EN: 1
; COMPUTE_PGM_RSRC2:TGID_Y_EN: 0
; COMPUTE_PGM_RSRC2:TGID_Z_EN: 0
; COMPUTE_PGM_RSRC2:TIDIG_COMP_CNT: 0
	.section	.text._ZN9rocsparseL29bsrmmnt_small_blockdim_kernelILj64ELj8ELj2EllaaffEEv20rocsparse_direction_T3_S2_llNS_24const_host_device_scalarIT7_EEPKT2_PKS2_PKT4_PKT5_llS5_PT6_ll16rocsparse_order_21rocsparse_index_base_b,"axG",@progbits,_ZN9rocsparseL29bsrmmnt_small_blockdim_kernelILj64ELj8ELj2EllaaffEEv20rocsparse_direction_T3_S2_llNS_24const_host_device_scalarIT7_EEPKT2_PKS2_PKT4_PKT5_llS5_PT6_ll16rocsparse_order_21rocsparse_index_base_b,comdat
	.globl	_ZN9rocsparseL29bsrmmnt_small_blockdim_kernelILj64ELj8ELj2EllaaffEEv20rocsparse_direction_T3_S2_llNS_24const_host_device_scalarIT7_EEPKT2_PKS2_PKT4_PKT5_llS5_PT6_ll16rocsparse_order_21rocsparse_index_base_b ; -- Begin function _ZN9rocsparseL29bsrmmnt_small_blockdim_kernelILj64ELj8ELj2EllaaffEEv20rocsparse_direction_T3_S2_llNS_24const_host_device_scalarIT7_EEPKT2_PKS2_PKT4_PKT5_llS5_PT6_ll16rocsparse_order_21rocsparse_index_base_b
	.p2align	8
	.type	_ZN9rocsparseL29bsrmmnt_small_blockdim_kernelILj64ELj8ELj2EllaaffEEv20rocsparse_direction_T3_S2_llNS_24const_host_device_scalarIT7_EEPKT2_PKS2_PKT4_PKT5_llS5_PT6_ll16rocsparse_order_21rocsparse_index_base_b,@function
_ZN9rocsparseL29bsrmmnt_small_blockdim_kernelILj64ELj8ELj2EllaaffEEv20rocsparse_direction_T3_S2_llNS_24const_host_device_scalarIT7_EEPKT2_PKS2_PKT4_PKT5_llS5_PT6_ll16rocsparse_order_21rocsparse_index_base_b: ; @_ZN9rocsparseL29bsrmmnt_small_blockdim_kernelILj64ELj8ELj2EllaaffEEv20rocsparse_direction_T3_S2_llNS_24const_host_device_scalarIT7_EEPKT2_PKS2_PKT4_PKT5_llS5_PT6_ll16rocsparse_order_21rocsparse_index_base_b
; %bb.0:
	s_load_dwordx4 s[0:3], s[4:5], 0x80
	s_load_dwordx2 s[24:25], s[4:5], 0x28
	s_load_dwordx2 s[26:27], s[4:5], 0x60
	s_waitcnt lgkmcnt(0)
	s_bitcmp1_b32 s2, 0
	s_cselect_b64 s[8:9], -1, 0
	s_xor_b64 s[2:3], s[8:9], -1
	s_and_b64 vcc, exec, s[8:9]
	s_cbranch_vccnz .LBB101_2
; %bb.1:
	s_load_dword s24, s[24:25], 0x0
.LBB101_2:
	s_andn2_b64 vcc, exec, s[2:3]
	s_cbranch_vccnz .LBB101_4
; %bb.3:
	s_load_dword s26, s[26:27], 0x0
.LBB101_4:
	s_waitcnt lgkmcnt(0)
	v_cmp_eq_f32_e64 s[2:3], s24, 0
	v_cmp_eq_f32_e64 s[8:9], s26, 1.0
	s_and_b64 s[2:3], s[2:3], s[8:9]
	s_and_b64 vcc, exec, s[2:3]
	s_cbranch_vccnz .LBB101_30
; %bb.5:
	s_load_dword s2, s[4:5], 0x9c
	s_load_dwordx4 s[16:19], s[4:5], 0x8
	v_mov_b32_e32 v2, 0
	s_waitcnt lgkmcnt(0)
	s_and_b32 s2, s2, 0xffff
	s_mul_i32 s6, s6, s2
	v_add_u32_e32 v3, s6, v0
	v_lshrrev_b32_e32 v1, 4, v3
	v_cmp_gt_i64_e32 vcc, s[16:17], v[1:2]
	s_and_saveexec_b64 s[2:3], vcc
	s_cbranch_execz .LBB101_30
; %bb.6:
	v_cmp_lt_i64_e64 s[2:3], s[18:19], 1
	s_and_b64 vcc, exec, s[2:3]
	s_cbranch_vccnz .LBB101_30
; %bb.7:
	s_load_dwordx8 s[8:15], s[4:5], 0x30
	v_lshlrev_b32_e32 v1, 3, v1
	v_lshrrev_b32_e32 v10, 3, v3
	v_and_b32_e32 v14, 7, v0
	v_lshrrev_b32_e32 v0, 3, v0
	s_waitcnt lgkmcnt(0)
	global_load_dwordx4 v[4:7], v1, s[8:9]
	s_load_dword s2, s[4:5], 0x0
	s_load_dwordx4 s[20:23], s[4:5], 0x68
	s_load_dwordx2 s[6:7], s[4:5], 0x50
	v_bfe_u32 v1, v3, 3, 1
	v_lshlrev_b32_e32 v15, 6, v0
	s_waitcnt lgkmcnt(0)
	s_cmp_eq_u32 s2, 0
	v_mad_u64_u32 v[8:9], s[2:3], v10, s22, 0
	v_mul_u32_u24_e32 v0, 24, v0
	v_lshlrev_b32_e32 v3, 2, v10
	v_or_b32_e32 v16, 0x200, v0
	v_mov_b32_e32 v0, s21
	s_cselect_b64 s[2:3], -1, 0
	v_add_co_u32_e32 v17, vcc, s20, v3
	v_mov_b32_e32 v2, 0
	v_addc_co_u32_e32 v18, vcc, 0, v0, vcc
	v_cndmask_b32_e64 v0, 0, 1, s[2:3]
	s_cmp_lg_u32 s0, 1
	v_lshlrev_b64 v[0:1], v0, v[1:2]
	v_mov_b32_e32 v2, v9
	s_cselect_b64 s[16:17], -1, 0
	s_and_b64 s[2:3], s[2:3], exec
	v_mad_u64_u32 v[2:3], s[2:3], v10, s23, v[2:3]
	v_mov_b32_e32 v13, s13
	v_add_co_u32_e32 v19, vcc, s12, v0
	v_mov_b32_e32 v9, v2
	v_addc_co_u32_e32 v20, vcc, v13, v1, vcc
	v_lshlrev_b64 v[0:1], 2, v[8:9]
	v_mov_b32_e32 v12, s21
	v_add_co_u32_e32 v21, vcc, s20, v0
	v_addc_co_u32_e32 v22, vcc, v12, v1, vcc
	s_mov_b32 s25, s1
	v_mul_u32_u24_e32 v11, 3, v14
	v_cmp_neq_f32_e64 s[8:9], s26, 0
	s_cselect_b32 s27, 1, 2
	s_mov_b64 s[12:13], 0
	v_add_u32_e32 v23, v16, v11
	s_waitcnt vmcnt(0)
	v_subrev_co_u32_e32 v0, vcc, s1, v4
	v_subbrev_co_u32_e32 v1, vcc, 0, v5, vcc
	v_subrev_co_u32_e32 v2, vcc, s1, v6
	v_cmp_lt_i64_e64 s[0:1], v[4:5], v[6:7]
	v_subbrev_co_u32_e32 v3, vcc, 0, v7, vcc
	s_branch .LBB101_9
.LBB101_8:                              ;   in Loop: Header=BB101_9 Depth=1
	s_or_b64 exec, exec, s[2:3]
	s_add_u32 s12, s12, 8
	v_mov_b32_e32 v4, s18
	s_addc_u32 s13, s13, 0
	v_mov_b32_e32 v5, s19
	v_cmp_lt_i64_e32 vcc, s[12:13], v[4:5]
	s_cbranch_vccz .LBB101_30
.LBB101_9:                              ; =>This Loop Header: Depth=1
                                        ;     Child Loop BB101_12 Depth 2
                                        ;       Child Loop BB101_16 Depth 3
	v_mov_b32_e32 v5, s13
	v_or_b32_e32 v4, s12, v14
	v_mov_b32_e32 v24, 0
	s_and_saveexec_b64 s[20:21], s[0:1]
	s_cbranch_execz .LBB101_18
; %bb.10:                               ;   in Loop: Header=BB101_9 Depth=1
	v_cmp_gt_i64_e32 vcc, s[18:19], v[4:5]
	v_mov_b32_e32 v7, s15
	v_add_co_u32_e64 v6, s[2:3], s14, v4
	v_mov_b32_e32 v9, v1
	v_addc_co_u32_e64 v7, s[2:3], v7, v5, s[2:3]
	v_mov_b32_e32 v24, 0
	s_mov_b64 s[28:29], 0
	v_mov_b32_e32 v8, v0
	s_branch .LBB101_12
.LBB101_11:                             ;   in Loop: Header=BB101_12 Depth=2
	s_or_b64 exec, exec, s[30:31]
	v_add_co_u32_e64 v8, s[2:3], 8, v8
	v_addc_co_u32_e64 v9, s[2:3], 0, v9, s[2:3]
	v_cmp_ge_i64_e64 s[2:3], v[8:9], v[2:3]
	s_or_b64 s[28:29], s[2:3], s[28:29]
	s_andn2_b64 exec, exec, s[28:29]
	s_cbranch_execz .LBB101_17
.LBB101_12:                             ;   Parent Loop BB101_9 Depth=1
                                        ; =>  This Loop Header: Depth=2
                                        ;       Child Loop BB101_16 Depth 3
	v_add_co_u32_e64 v10, s[2:3], v8, v14
	v_addc_co_u32_e64 v11, s[2:3], 0, v9, s[2:3]
	v_cmp_lt_i64_e64 s[2:3], v[10:11], v[2:3]
	v_mov_b32_e32 v12, 0
	v_mov_b32_e32 v13, 0
	;; [unrolled: 1-line block ×4, first 2 shown]
	s_and_saveexec_b64 s[4:5], s[2:3]
	s_cbranch_execz .LBB101_14
; %bb.13:                               ;   in Loop: Header=BB101_12 Depth=2
	v_lshlrev_b64 v[12:13], 3, v[10:11]
	v_mov_b32_e32 v25, s11
	v_add_co_u32_e64 v12, s[2:3], s10, v12
	v_addc_co_u32_e64 v13, s[2:3], v25, v13, s[2:3]
	v_lshlrev_b64 v[10:11], 2, v[10:11]
	global_load_dwordx2 v[12:13], v[12:13], off
	v_add_co_u32_e64 v10, s[2:3], v19, v10
	v_addc_co_u32_e64 v11, s[2:3], v20, v11, s[2:3]
	v_add_co_u32_e64 v27, s[2:3], s27, v10
	v_addc_co_u32_e64 v28, s[2:3], 0, v11, s[2:3]
	global_load_ubyte v25, v[10:11], off
	global_load_ubyte v26, v[27:28], off
	s_waitcnt vmcnt(2)
	v_subrev_co_u32_e64 v10, s[2:3], s25, v12
	v_subbrev_co_u32_e64 v11, s[2:3], 0, v13, s[2:3]
	v_lshlrev_b64 v[12:13], 1, v[10:11]
.LBB101_14:                             ;   in Loop: Header=BB101_12 Depth=2
	s_or_b64 exec, exec, s[4:5]
	v_lshl_or_b32 v10, v14, 3, v15
	ds_write_b64 v10, v[12:13]
	s_waitcnt vmcnt(1)
	ds_write_b8 v23, v25
	s_waitcnt vmcnt(0)
	ds_write_b8 v23, v26 offset:1
	s_waitcnt lgkmcnt(0)
	; wave barrier
	s_and_saveexec_b64 s[30:31], vcc
	s_cbranch_execz .LBB101_11
; %bb.15:                               ;   in Loop: Header=BB101_12 Depth=2
	s_mov_b32 s33, 0
	v_mov_b32_e32 v10, v15
.LBB101_16:                             ;   Parent Loop BB101_9 Depth=1
                                        ;     Parent Loop BB101_12 Depth=2
                                        ; =>    This Inner Loop Header: Depth=3
	ds_read_b128 v[25:28], v10
	v_mov_b32_e32 v13, s7
	v_add_u32_e32 v10, 16, v10
	s_waitcnt lgkmcnt(0)
	v_mad_u64_u32 v[11:12], s[2:3], v25, s6, v[6:7]
	v_mul_lo_u32 v29, v25, s7
	v_mul_lo_u32 v30, v26, s6
	v_mad_u64_u32 v[25:26], s[2:3], v27, s6, v[6:7]
	v_mul_lo_u32 v27, v27, s7
	v_mul_lo_u32 v28, v28, s6
	v_add3_u32 v12, v30, v12, v29
	v_add_co_u32_e64 v29, s[4:5], s6, v11
	v_add3_u32 v26, v28, v26, v27
	v_add_co_u32_e64 v27, s[2:3], s6, v25
	v_addc_co_u32_e64 v30, s[4:5], v12, v13, s[4:5]
	v_addc_co_u32_e64 v28, s[2:3], v26, v13, s[2:3]
	global_load_sbyte v13, v[11:12], off
	global_load_sbyte v31, v[29:30], off
	;; [unrolled: 1-line block ×4, first 2 shown]
	v_add_u32_e32 v11, s33, v16
	ds_read_u16 v12, v11
	ds_read_i8 v25, v11 offset:3
	ds_read_i8 v11, v11 offset:4
	s_add_i32 s33, s33, 6
	s_cmp_lg_u32 s33, 24
	s_waitcnt lgkmcnt(2)
	v_bfe_i32 v26, v12, 0, 8
	v_ashrrev_i16_e32 v12, 8, v12
	v_cvt_f32_i32_sdwa v26, sext(v26) dst_sel:DWORD dst_unused:UNUSED_PAD src0_sel:WORD_0
	v_cvt_f32_i32_sdwa v12, sext(v12) dst_sel:DWORD dst_unused:UNUSED_PAD src0_sel:WORD_0
	s_waitcnt lgkmcnt(1)
	v_cvt_f32_i32_e32 v25, v25
	s_waitcnt lgkmcnt(0)
	v_cvt_f32_i32_e32 v11, v11
	s_waitcnt vmcnt(3)
	v_cvt_f32_i32_e32 v13, v13
	s_waitcnt vmcnt(2)
	;; [unrolled: 2-line block ×4, first 2 shown]
	v_cvt_f32_i32_e32 v29, v33
	v_fmac_f32_e32 v24, v26, v13
	v_fmac_f32_e32 v24, v12, v27
	;; [unrolled: 1-line block ×4, first 2 shown]
	s_cbranch_scc1 .LBB101_16
	s_branch .LBB101_11
.LBB101_17:                             ;   in Loop: Header=BB101_9 Depth=1
	s_or_b64 exec, exec, s[28:29]
.LBB101_18:                             ;   in Loop: Header=BB101_9 Depth=1
	s_or_b64 exec, exec, s[20:21]
	v_cmp_gt_i64_e32 vcc, s[18:19], v[4:5]
	s_and_saveexec_b64 s[2:3], vcc
	s_cbranch_execz .LBB101_8
; %bb.19:                               ;   in Loop: Header=BB101_9 Depth=1
	s_mov_b64 s[4:5], -1
	s_and_b64 vcc, exec, s[8:9]
	s_cbranch_vccz .LBB101_25
; %bb.20:                               ;   in Loop: Header=BB101_9 Depth=1
	s_and_b64 vcc, exec, s[16:17]
	s_cbranch_vccz .LBB101_22
; %bb.21:                               ;   in Loop: Header=BB101_9 Depth=1
	v_lshlrev_b64 v[6:7], 2, v[4:5]
	v_mul_f32_e32 v9, s24, v24
	v_add_co_u32_e32 v6, vcc, v21, v6
	v_addc_co_u32_e32 v7, vcc, v22, v7, vcc
	global_load_dword v8, v[6:7], off
	s_mov_b64 s[4:5], 0
	s_waitcnt vmcnt(0)
	v_fmac_f32_e32 v9, s26, v8
	global_store_dword v[6:7], v9, off
.LBB101_22:                             ;   in Loop: Header=BB101_9 Depth=1
	s_andn2_b64 vcc, exec, s[4:5]
	s_cbranch_vccnz .LBB101_24
; %bb.23:                               ;   in Loop: Header=BB101_9 Depth=1
	v_mul_lo_u32 v8, v5, s22
	v_mul_lo_u32 v9, v4, s23
	v_mad_u64_u32 v[6:7], s[4:5], v4, s22, 0
	v_add3_u32 v7, v7, v9, v8
	v_lshlrev_b64 v[6:7], 2, v[6:7]
	v_mul_f32_e32 v9, s24, v24
	v_add_co_u32_e32 v6, vcc, v17, v6
	v_addc_co_u32_e32 v7, vcc, v18, v7, vcc
	global_load_dword v8, v[6:7], off
	s_waitcnt vmcnt(0)
	v_fmac_f32_e32 v9, s26, v8
	global_store_dword v[6:7], v9, off
.LBB101_24:                             ;   in Loop: Header=BB101_9 Depth=1
	s_mov_b64 s[4:5], 0
.LBB101_25:                             ;   in Loop: Header=BB101_9 Depth=1
	s_andn2_b64 vcc, exec, s[4:5]
	s_cbranch_vccnz .LBB101_8
; %bb.26:                               ;   in Loop: Header=BB101_9 Depth=1
	v_mul_f32_e32 v6, s24, v24
	s_mov_b64 s[4:5], -1
	s_and_b64 vcc, exec, s[16:17]
	s_cbranch_vccz .LBB101_28
; %bb.27:                               ;   in Loop: Header=BB101_9 Depth=1
	v_lshlrev_b64 v[7:8], 2, v[4:5]
	s_mov_b64 s[4:5], 0
	v_add_co_u32_e32 v7, vcc, v21, v7
	v_addc_co_u32_e32 v8, vcc, v22, v8, vcc
	global_store_dword v[7:8], v6, off
.LBB101_28:                             ;   in Loop: Header=BB101_9 Depth=1
	s_andn2_b64 vcc, exec, s[4:5]
	s_cbranch_vccnz .LBB101_8
; %bb.29:                               ;   in Loop: Header=BB101_9 Depth=1
	v_mul_lo_u32 v7, v5, s22
	v_mul_lo_u32 v8, v4, s23
	v_mad_u64_u32 v[4:5], s[4:5], v4, s22, 0
	v_add3_u32 v5, v5, v8, v7
	v_lshlrev_b64 v[4:5], 2, v[4:5]
	v_add_co_u32_e32 v4, vcc, v17, v4
	v_addc_co_u32_e32 v5, vcc, v18, v5, vcc
	global_store_dword v[4:5], v6, off
	s_branch .LBB101_8
.LBB101_30:
	s_endpgm
	.section	.rodata,"a",@progbits
	.p2align	6, 0x0
	.amdhsa_kernel _ZN9rocsparseL29bsrmmnt_small_blockdim_kernelILj64ELj8ELj2EllaaffEEv20rocsparse_direction_T3_S2_llNS_24const_host_device_scalarIT7_EEPKT2_PKS2_PKT4_PKT5_llS5_PT6_ll16rocsparse_order_21rocsparse_index_base_b
		.amdhsa_group_segment_fixed_size 704
		.amdhsa_private_segment_fixed_size 0
		.amdhsa_kernarg_size 400
		.amdhsa_user_sgpr_count 6
		.amdhsa_user_sgpr_private_segment_buffer 1
		.amdhsa_user_sgpr_dispatch_ptr 0
		.amdhsa_user_sgpr_queue_ptr 0
		.amdhsa_user_sgpr_kernarg_segment_ptr 1
		.amdhsa_user_sgpr_dispatch_id 0
		.amdhsa_user_sgpr_flat_scratch_init 0
		.amdhsa_user_sgpr_private_segment_size 0
		.amdhsa_uses_dynamic_stack 0
		.amdhsa_system_sgpr_private_segment_wavefront_offset 0
		.amdhsa_system_sgpr_workgroup_id_x 1
		.amdhsa_system_sgpr_workgroup_id_y 0
		.amdhsa_system_sgpr_workgroup_id_z 0
		.amdhsa_system_sgpr_workgroup_info 0
		.amdhsa_system_vgpr_workitem_id 0
		.amdhsa_next_free_vgpr 34
		.amdhsa_next_free_sgpr 34
		.amdhsa_reserve_vcc 1
		.amdhsa_reserve_flat_scratch 0
		.amdhsa_float_round_mode_32 0
		.amdhsa_float_round_mode_16_64 0
		.amdhsa_float_denorm_mode_32 3
		.amdhsa_float_denorm_mode_16_64 3
		.amdhsa_dx10_clamp 1
		.amdhsa_ieee_mode 1
		.amdhsa_fp16_overflow 0
		.amdhsa_exception_fp_ieee_invalid_op 0
		.amdhsa_exception_fp_denorm_src 0
		.amdhsa_exception_fp_ieee_div_zero 0
		.amdhsa_exception_fp_ieee_overflow 0
		.amdhsa_exception_fp_ieee_underflow 0
		.amdhsa_exception_fp_ieee_inexact 0
		.amdhsa_exception_int_div_zero 0
	.end_amdhsa_kernel
	.section	.text._ZN9rocsparseL29bsrmmnt_small_blockdim_kernelILj64ELj8ELj2EllaaffEEv20rocsparse_direction_T3_S2_llNS_24const_host_device_scalarIT7_EEPKT2_PKS2_PKT4_PKT5_llS5_PT6_ll16rocsparse_order_21rocsparse_index_base_b,"axG",@progbits,_ZN9rocsparseL29bsrmmnt_small_blockdim_kernelILj64ELj8ELj2EllaaffEEv20rocsparse_direction_T3_S2_llNS_24const_host_device_scalarIT7_EEPKT2_PKS2_PKT4_PKT5_llS5_PT6_ll16rocsparse_order_21rocsparse_index_base_b,comdat
.Lfunc_end101:
	.size	_ZN9rocsparseL29bsrmmnt_small_blockdim_kernelILj64ELj8ELj2EllaaffEEv20rocsparse_direction_T3_S2_llNS_24const_host_device_scalarIT7_EEPKT2_PKS2_PKT4_PKT5_llS5_PT6_ll16rocsparse_order_21rocsparse_index_base_b, .Lfunc_end101-_ZN9rocsparseL29bsrmmnt_small_blockdim_kernelILj64ELj8ELj2EllaaffEEv20rocsparse_direction_T3_S2_llNS_24const_host_device_scalarIT7_EEPKT2_PKS2_PKT4_PKT5_llS5_PT6_ll16rocsparse_order_21rocsparse_index_base_b
                                        ; -- End function
	.set _ZN9rocsparseL29bsrmmnt_small_blockdim_kernelILj64ELj8ELj2EllaaffEEv20rocsparse_direction_T3_S2_llNS_24const_host_device_scalarIT7_EEPKT2_PKS2_PKT4_PKT5_llS5_PT6_ll16rocsparse_order_21rocsparse_index_base_b.num_vgpr, 34
	.set _ZN9rocsparseL29bsrmmnt_small_blockdim_kernelILj64ELj8ELj2EllaaffEEv20rocsparse_direction_T3_S2_llNS_24const_host_device_scalarIT7_EEPKT2_PKS2_PKT4_PKT5_llS5_PT6_ll16rocsparse_order_21rocsparse_index_base_b.num_agpr, 0
	.set _ZN9rocsparseL29bsrmmnt_small_blockdim_kernelILj64ELj8ELj2EllaaffEEv20rocsparse_direction_T3_S2_llNS_24const_host_device_scalarIT7_EEPKT2_PKS2_PKT4_PKT5_llS5_PT6_ll16rocsparse_order_21rocsparse_index_base_b.numbered_sgpr, 34
	.set _ZN9rocsparseL29bsrmmnt_small_blockdim_kernelILj64ELj8ELj2EllaaffEEv20rocsparse_direction_T3_S2_llNS_24const_host_device_scalarIT7_EEPKT2_PKS2_PKT4_PKT5_llS5_PT6_ll16rocsparse_order_21rocsparse_index_base_b.num_named_barrier, 0
	.set _ZN9rocsparseL29bsrmmnt_small_blockdim_kernelILj64ELj8ELj2EllaaffEEv20rocsparse_direction_T3_S2_llNS_24const_host_device_scalarIT7_EEPKT2_PKS2_PKT4_PKT5_llS5_PT6_ll16rocsparse_order_21rocsparse_index_base_b.private_seg_size, 0
	.set _ZN9rocsparseL29bsrmmnt_small_blockdim_kernelILj64ELj8ELj2EllaaffEEv20rocsparse_direction_T3_S2_llNS_24const_host_device_scalarIT7_EEPKT2_PKS2_PKT4_PKT5_llS5_PT6_ll16rocsparse_order_21rocsparse_index_base_b.uses_vcc, 1
	.set _ZN9rocsparseL29bsrmmnt_small_blockdim_kernelILj64ELj8ELj2EllaaffEEv20rocsparse_direction_T3_S2_llNS_24const_host_device_scalarIT7_EEPKT2_PKS2_PKT4_PKT5_llS5_PT6_ll16rocsparse_order_21rocsparse_index_base_b.uses_flat_scratch, 0
	.set _ZN9rocsparseL29bsrmmnt_small_blockdim_kernelILj64ELj8ELj2EllaaffEEv20rocsparse_direction_T3_S2_llNS_24const_host_device_scalarIT7_EEPKT2_PKS2_PKT4_PKT5_llS5_PT6_ll16rocsparse_order_21rocsparse_index_base_b.has_dyn_sized_stack, 0
	.set _ZN9rocsparseL29bsrmmnt_small_blockdim_kernelILj64ELj8ELj2EllaaffEEv20rocsparse_direction_T3_S2_llNS_24const_host_device_scalarIT7_EEPKT2_PKS2_PKT4_PKT5_llS5_PT6_ll16rocsparse_order_21rocsparse_index_base_b.has_recursion, 0
	.set _ZN9rocsparseL29bsrmmnt_small_blockdim_kernelILj64ELj8ELj2EllaaffEEv20rocsparse_direction_T3_S2_llNS_24const_host_device_scalarIT7_EEPKT2_PKS2_PKT4_PKT5_llS5_PT6_ll16rocsparse_order_21rocsparse_index_base_b.has_indirect_call, 0
	.section	.AMDGPU.csdata,"",@progbits
; Kernel info:
; codeLenInByte = 1388
; TotalNumSgprs: 38
; NumVgprs: 34
; ScratchSize: 0
; MemoryBound: 0
; FloatMode: 240
; IeeeMode: 1
; LDSByteSize: 704 bytes/workgroup (compile time only)
; SGPRBlocks: 4
; VGPRBlocks: 8
; NumSGPRsForWavesPerEU: 38
; NumVGPRsForWavesPerEU: 34
; Occupancy: 7
; WaveLimiterHint : 1
; COMPUTE_PGM_RSRC2:SCRATCH_EN: 0
; COMPUTE_PGM_RSRC2:USER_SGPR: 6
; COMPUTE_PGM_RSRC2:TRAP_HANDLER: 0
; COMPUTE_PGM_RSRC2:TGID_X_EN: 1
; COMPUTE_PGM_RSRC2:TGID_Y_EN: 0
; COMPUTE_PGM_RSRC2:TGID_Z_EN: 0
; COMPUTE_PGM_RSRC2:TIDIG_COMP_CNT: 0
	.section	.text._ZN9rocsparseL29bsrmmnt_small_blockdim_kernelILj64ELj16ELj2EllaaffEEv20rocsparse_direction_T3_S2_llNS_24const_host_device_scalarIT7_EEPKT2_PKS2_PKT4_PKT5_llS5_PT6_ll16rocsparse_order_21rocsparse_index_base_b,"axG",@progbits,_ZN9rocsparseL29bsrmmnt_small_blockdim_kernelILj64ELj16ELj2EllaaffEEv20rocsparse_direction_T3_S2_llNS_24const_host_device_scalarIT7_EEPKT2_PKS2_PKT4_PKT5_llS5_PT6_ll16rocsparse_order_21rocsparse_index_base_b,comdat
	.globl	_ZN9rocsparseL29bsrmmnt_small_blockdim_kernelILj64ELj16ELj2EllaaffEEv20rocsparse_direction_T3_S2_llNS_24const_host_device_scalarIT7_EEPKT2_PKS2_PKT4_PKT5_llS5_PT6_ll16rocsparse_order_21rocsparse_index_base_b ; -- Begin function _ZN9rocsparseL29bsrmmnt_small_blockdim_kernelILj64ELj16ELj2EllaaffEEv20rocsparse_direction_T3_S2_llNS_24const_host_device_scalarIT7_EEPKT2_PKS2_PKT4_PKT5_llS5_PT6_ll16rocsparse_order_21rocsparse_index_base_b
	.p2align	8
	.type	_ZN9rocsparseL29bsrmmnt_small_blockdim_kernelILj64ELj16ELj2EllaaffEEv20rocsparse_direction_T3_S2_llNS_24const_host_device_scalarIT7_EEPKT2_PKS2_PKT4_PKT5_llS5_PT6_ll16rocsparse_order_21rocsparse_index_base_b,@function
_ZN9rocsparseL29bsrmmnt_small_blockdim_kernelILj64ELj16ELj2EllaaffEEv20rocsparse_direction_T3_S2_llNS_24const_host_device_scalarIT7_EEPKT2_PKS2_PKT4_PKT5_llS5_PT6_ll16rocsparse_order_21rocsparse_index_base_b: ; @_ZN9rocsparseL29bsrmmnt_small_blockdim_kernelILj64ELj16ELj2EllaaffEEv20rocsparse_direction_T3_S2_llNS_24const_host_device_scalarIT7_EEPKT2_PKS2_PKT4_PKT5_llS5_PT6_ll16rocsparse_order_21rocsparse_index_base_b
; %bb.0:
	s_load_dwordx4 s[0:3], s[4:5], 0x80
	s_load_dwordx2 s[24:25], s[4:5], 0x28
	s_load_dwordx2 s[26:27], s[4:5], 0x60
	s_waitcnt lgkmcnt(0)
	s_bitcmp1_b32 s2, 0
	s_cselect_b64 s[8:9], -1, 0
	s_xor_b64 s[2:3], s[8:9], -1
	s_and_b64 vcc, exec, s[8:9]
	s_cbranch_vccnz .LBB102_2
; %bb.1:
	s_load_dword s24, s[24:25], 0x0
.LBB102_2:
	s_andn2_b64 vcc, exec, s[2:3]
	s_cbranch_vccnz .LBB102_4
; %bb.3:
	s_load_dword s26, s[26:27], 0x0
.LBB102_4:
	s_waitcnt lgkmcnt(0)
	v_cmp_eq_f32_e64 s[2:3], s24, 0
	v_cmp_eq_f32_e64 s[8:9], s26, 1.0
	s_and_b64 s[2:3], s[2:3], s[8:9]
	s_and_b64 vcc, exec, s[2:3]
	s_cbranch_vccnz .LBB102_30
; %bb.5:
	s_load_dword s2, s[4:5], 0x9c
	s_load_dwordx4 s[16:19], s[4:5], 0x8
	v_mov_b32_e32 v2, 0
	s_waitcnt lgkmcnt(0)
	s_and_b32 s2, s2, 0xffff
	s_mul_i32 s6, s6, s2
	v_add_u32_e32 v3, s6, v0
	v_lshrrev_b32_e32 v1, 5, v3
	v_cmp_gt_i64_e32 vcc, s[16:17], v[1:2]
	s_and_saveexec_b64 s[2:3], vcc
	s_cbranch_execz .LBB102_30
; %bb.6:
	v_cmp_lt_i64_e64 s[2:3], s[18:19], 1
	s_and_b64 vcc, exec, s[2:3]
	s_cbranch_vccnz .LBB102_30
; %bb.7:
	s_load_dwordx8 s[8:15], s[4:5], 0x30
	v_lshlrev_b32_e32 v1, 3, v1
	v_lshrrev_b32_e32 v10, 4, v3
	v_and_b32_e32 v14, 15, v0
	v_lshrrev_b32_e32 v0, 4, v0
	s_waitcnt lgkmcnt(0)
	global_load_dwordx4 v[4:7], v1, s[8:9]
	s_load_dword s2, s[4:5], 0x0
	s_load_dwordx4 s[20:23], s[4:5], 0x68
	s_load_dwordx2 s[6:7], s[4:5], 0x50
	v_bfe_u32 v1, v3, 4, 1
	v_lshlrev_b32_e32 v15, 7, v0
	s_waitcnt lgkmcnt(0)
	s_cmp_eq_u32 s2, 0
	v_mad_u64_u32 v[8:9], s[2:3], v10, s22, 0
	v_mul_u32_u24_e32 v0, 48, v0
	v_lshlrev_b32_e32 v3, 2, v10
	v_or_b32_e32 v16, 0x200, v0
	v_mov_b32_e32 v0, s21
	s_cselect_b64 s[2:3], -1, 0
	v_add_co_u32_e32 v17, vcc, s20, v3
	v_mov_b32_e32 v2, 0
	v_addc_co_u32_e32 v18, vcc, 0, v0, vcc
	v_cndmask_b32_e64 v0, 0, 1, s[2:3]
	s_cmp_lg_u32 s0, 1
	v_lshlrev_b64 v[0:1], v0, v[1:2]
	v_mov_b32_e32 v2, v9
	s_cselect_b64 s[16:17], -1, 0
	s_and_b64 s[2:3], s[2:3], exec
	v_mad_u64_u32 v[2:3], s[2:3], v10, s23, v[2:3]
	v_mov_b32_e32 v13, s13
	v_add_co_u32_e32 v19, vcc, s12, v0
	v_mov_b32_e32 v9, v2
	v_addc_co_u32_e32 v20, vcc, v13, v1, vcc
	v_lshlrev_b64 v[0:1], 2, v[8:9]
	v_mov_b32_e32 v12, s21
	v_add_co_u32_e32 v21, vcc, s20, v0
	v_addc_co_u32_e32 v22, vcc, v12, v1, vcc
	s_mov_b32 s25, s1
	v_mul_u32_u24_e32 v11, 3, v14
	v_cmp_neq_f32_e64 s[8:9], s26, 0
	s_cselect_b32 s27, 1, 2
	s_mov_b64 s[12:13], 0
	v_add_u32_e32 v23, v16, v11
	s_waitcnt vmcnt(0)
	v_subrev_co_u32_e32 v0, vcc, s1, v4
	v_subbrev_co_u32_e32 v1, vcc, 0, v5, vcc
	v_subrev_co_u32_e32 v2, vcc, s1, v6
	v_cmp_lt_i64_e64 s[0:1], v[4:5], v[6:7]
	v_subbrev_co_u32_e32 v3, vcc, 0, v7, vcc
	s_branch .LBB102_9
.LBB102_8:                              ;   in Loop: Header=BB102_9 Depth=1
	s_or_b64 exec, exec, s[2:3]
	s_add_u32 s12, s12, 16
	v_mov_b32_e32 v4, s18
	s_addc_u32 s13, s13, 0
	v_mov_b32_e32 v5, s19
	v_cmp_lt_i64_e32 vcc, s[12:13], v[4:5]
	s_cbranch_vccz .LBB102_30
.LBB102_9:                              ; =>This Loop Header: Depth=1
                                        ;     Child Loop BB102_12 Depth 2
                                        ;       Child Loop BB102_16 Depth 3
	v_mov_b32_e32 v5, s13
	v_or_b32_e32 v4, s12, v14
	v_mov_b32_e32 v24, 0
	s_and_saveexec_b64 s[20:21], s[0:1]
	s_cbranch_execz .LBB102_18
; %bb.10:                               ;   in Loop: Header=BB102_9 Depth=1
	v_cmp_gt_i64_e32 vcc, s[18:19], v[4:5]
	v_mov_b32_e32 v7, s15
	v_add_co_u32_e64 v6, s[2:3], s14, v4
	v_mov_b32_e32 v9, v1
	v_addc_co_u32_e64 v7, s[2:3], v7, v5, s[2:3]
	v_mov_b32_e32 v24, 0
	s_mov_b64 s[28:29], 0
	v_mov_b32_e32 v8, v0
	s_branch .LBB102_12
.LBB102_11:                             ;   in Loop: Header=BB102_12 Depth=2
	s_or_b64 exec, exec, s[30:31]
	v_add_co_u32_e64 v8, s[2:3], 16, v8
	v_addc_co_u32_e64 v9, s[2:3], 0, v9, s[2:3]
	v_cmp_ge_i64_e64 s[2:3], v[8:9], v[2:3]
	s_or_b64 s[28:29], s[2:3], s[28:29]
	s_andn2_b64 exec, exec, s[28:29]
	s_cbranch_execz .LBB102_17
.LBB102_12:                             ;   Parent Loop BB102_9 Depth=1
                                        ; =>  This Loop Header: Depth=2
                                        ;       Child Loop BB102_16 Depth 3
	v_add_co_u32_e64 v10, s[2:3], v8, v14
	v_addc_co_u32_e64 v11, s[2:3], 0, v9, s[2:3]
	v_cmp_lt_i64_e64 s[2:3], v[10:11], v[2:3]
	v_mov_b32_e32 v12, 0
	v_mov_b32_e32 v13, 0
	v_mov_b32_e32 v25, 0
	v_mov_b32_e32 v26, 0
	s_and_saveexec_b64 s[4:5], s[2:3]
	s_cbranch_execz .LBB102_14
; %bb.13:                               ;   in Loop: Header=BB102_12 Depth=2
	v_lshlrev_b64 v[12:13], 3, v[10:11]
	v_mov_b32_e32 v25, s11
	v_add_co_u32_e64 v12, s[2:3], s10, v12
	v_addc_co_u32_e64 v13, s[2:3], v25, v13, s[2:3]
	v_lshlrev_b64 v[10:11], 2, v[10:11]
	global_load_dwordx2 v[12:13], v[12:13], off
	v_add_co_u32_e64 v10, s[2:3], v19, v10
	v_addc_co_u32_e64 v11, s[2:3], v20, v11, s[2:3]
	v_add_co_u32_e64 v27, s[2:3], s27, v10
	v_addc_co_u32_e64 v28, s[2:3], 0, v11, s[2:3]
	global_load_ubyte v25, v[10:11], off
	global_load_ubyte v26, v[27:28], off
	s_waitcnt vmcnt(2)
	v_subrev_co_u32_e64 v10, s[2:3], s25, v12
	v_subbrev_co_u32_e64 v11, s[2:3], 0, v13, s[2:3]
	v_lshlrev_b64 v[12:13], 1, v[10:11]
.LBB102_14:                             ;   in Loop: Header=BB102_12 Depth=2
	s_or_b64 exec, exec, s[4:5]
	v_lshl_or_b32 v10, v14, 3, v15
	ds_write_b64 v10, v[12:13]
	s_waitcnt vmcnt(1)
	ds_write_b8 v23, v25
	s_waitcnt vmcnt(0)
	ds_write_b8 v23, v26 offset:1
	s_waitcnt lgkmcnt(0)
	; wave barrier
	s_and_saveexec_b64 s[30:31], vcc
	s_cbranch_execz .LBB102_11
; %bb.15:                               ;   in Loop: Header=BB102_12 Depth=2
	s_mov_b32 s33, 0
	v_mov_b32_e32 v10, v15
.LBB102_16:                             ;   Parent Loop BB102_9 Depth=1
                                        ;     Parent Loop BB102_12 Depth=2
                                        ; =>    This Inner Loop Header: Depth=3
	ds_read_b128 v[25:28], v10
	v_mov_b32_e32 v13, s7
	v_add_u32_e32 v10, 16, v10
	s_waitcnt lgkmcnt(0)
	v_mad_u64_u32 v[11:12], s[2:3], v25, s6, v[6:7]
	v_mul_lo_u32 v29, v25, s7
	v_mul_lo_u32 v30, v26, s6
	v_mad_u64_u32 v[25:26], s[2:3], v27, s6, v[6:7]
	v_mul_lo_u32 v27, v27, s7
	v_mul_lo_u32 v28, v28, s6
	v_add3_u32 v12, v30, v12, v29
	v_add_co_u32_e64 v29, s[4:5], s6, v11
	v_add3_u32 v26, v28, v26, v27
	v_add_co_u32_e64 v27, s[2:3], s6, v25
	v_addc_co_u32_e64 v30, s[4:5], v12, v13, s[4:5]
	v_addc_co_u32_e64 v28, s[2:3], v26, v13, s[2:3]
	global_load_sbyte v13, v[11:12], off
	global_load_sbyte v31, v[29:30], off
	;; [unrolled: 1-line block ×4, first 2 shown]
	v_add_u32_e32 v11, s33, v16
	ds_read_u16 v12, v11
	ds_read_i8 v25, v11 offset:3
	ds_read_i8 v11, v11 offset:4
	s_add_i32 s33, s33, 6
	s_cmp_lg_u32 s33, 48
	s_waitcnt lgkmcnt(2)
	v_bfe_i32 v26, v12, 0, 8
	v_ashrrev_i16_e32 v12, 8, v12
	v_cvt_f32_i32_sdwa v26, sext(v26) dst_sel:DWORD dst_unused:UNUSED_PAD src0_sel:WORD_0
	v_cvt_f32_i32_sdwa v12, sext(v12) dst_sel:DWORD dst_unused:UNUSED_PAD src0_sel:WORD_0
	s_waitcnt lgkmcnt(1)
	v_cvt_f32_i32_e32 v25, v25
	s_waitcnt lgkmcnt(0)
	v_cvt_f32_i32_e32 v11, v11
	s_waitcnt vmcnt(3)
	v_cvt_f32_i32_e32 v13, v13
	s_waitcnt vmcnt(2)
	;; [unrolled: 2-line block ×4, first 2 shown]
	v_cvt_f32_i32_e32 v29, v33
	v_fmac_f32_e32 v24, v26, v13
	v_fmac_f32_e32 v24, v12, v27
	;; [unrolled: 1-line block ×4, first 2 shown]
	s_cbranch_scc1 .LBB102_16
	s_branch .LBB102_11
.LBB102_17:                             ;   in Loop: Header=BB102_9 Depth=1
	s_or_b64 exec, exec, s[28:29]
.LBB102_18:                             ;   in Loop: Header=BB102_9 Depth=1
	s_or_b64 exec, exec, s[20:21]
	v_cmp_gt_i64_e32 vcc, s[18:19], v[4:5]
	s_and_saveexec_b64 s[2:3], vcc
	s_cbranch_execz .LBB102_8
; %bb.19:                               ;   in Loop: Header=BB102_9 Depth=1
	s_mov_b64 s[4:5], -1
	s_and_b64 vcc, exec, s[8:9]
	s_cbranch_vccz .LBB102_25
; %bb.20:                               ;   in Loop: Header=BB102_9 Depth=1
	s_and_b64 vcc, exec, s[16:17]
	s_cbranch_vccz .LBB102_22
; %bb.21:                               ;   in Loop: Header=BB102_9 Depth=1
	v_lshlrev_b64 v[6:7], 2, v[4:5]
	v_mul_f32_e32 v9, s24, v24
	v_add_co_u32_e32 v6, vcc, v21, v6
	v_addc_co_u32_e32 v7, vcc, v22, v7, vcc
	global_load_dword v8, v[6:7], off
	s_mov_b64 s[4:5], 0
	s_waitcnt vmcnt(0)
	v_fmac_f32_e32 v9, s26, v8
	global_store_dword v[6:7], v9, off
.LBB102_22:                             ;   in Loop: Header=BB102_9 Depth=1
	s_andn2_b64 vcc, exec, s[4:5]
	s_cbranch_vccnz .LBB102_24
; %bb.23:                               ;   in Loop: Header=BB102_9 Depth=1
	v_mul_lo_u32 v8, v5, s22
	v_mul_lo_u32 v9, v4, s23
	v_mad_u64_u32 v[6:7], s[4:5], v4, s22, 0
	v_add3_u32 v7, v7, v9, v8
	v_lshlrev_b64 v[6:7], 2, v[6:7]
	v_mul_f32_e32 v9, s24, v24
	v_add_co_u32_e32 v6, vcc, v17, v6
	v_addc_co_u32_e32 v7, vcc, v18, v7, vcc
	global_load_dword v8, v[6:7], off
	s_waitcnt vmcnt(0)
	v_fmac_f32_e32 v9, s26, v8
	global_store_dword v[6:7], v9, off
.LBB102_24:                             ;   in Loop: Header=BB102_9 Depth=1
	s_mov_b64 s[4:5], 0
.LBB102_25:                             ;   in Loop: Header=BB102_9 Depth=1
	s_andn2_b64 vcc, exec, s[4:5]
	s_cbranch_vccnz .LBB102_8
; %bb.26:                               ;   in Loop: Header=BB102_9 Depth=1
	v_mul_f32_e32 v6, s24, v24
	s_mov_b64 s[4:5], -1
	s_and_b64 vcc, exec, s[16:17]
	s_cbranch_vccz .LBB102_28
; %bb.27:                               ;   in Loop: Header=BB102_9 Depth=1
	v_lshlrev_b64 v[7:8], 2, v[4:5]
	s_mov_b64 s[4:5], 0
	v_add_co_u32_e32 v7, vcc, v21, v7
	v_addc_co_u32_e32 v8, vcc, v22, v8, vcc
	global_store_dword v[7:8], v6, off
.LBB102_28:                             ;   in Loop: Header=BB102_9 Depth=1
	s_andn2_b64 vcc, exec, s[4:5]
	s_cbranch_vccnz .LBB102_8
; %bb.29:                               ;   in Loop: Header=BB102_9 Depth=1
	v_mul_lo_u32 v7, v5, s22
	v_mul_lo_u32 v8, v4, s23
	v_mad_u64_u32 v[4:5], s[4:5], v4, s22, 0
	v_add3_u32 v5, v5, v8, v7
	v_lshlrev_b64 v[4:5], 2, v[4:5]
	v_add_co_u32_e32 v4, vcc, v17, v4
	v_addc_co_u32_e32 v5, vcc, v18, v5, vcc
	global_store_dword v[4:5], v6, off
	s_branch .LBB102_8
.LBB102_30:
	s_endpgm
	.section	.rodata,"a",@progbits
	.p2align	6, 0x0
	.amdhsa_kernel _ZN9rocsparseL29bsrmmnt_small_blockdim_kernelILj64ELj16ELj2EllaaffEEv20rocsparse_direction_T3_S2_llNS_24const_host_device_scalarIT7_EEPKT2_PKS2_PKT4_PKT5_llS5_PT6_ll16rocsparse_order_21rocsparse_index_base_b
		.amdhsa_group_segment_fixed_size 704
		.amdhsa_private_segment_fixed_size 0
		.amdhsa_kernarg_size 400
		.amdhsa_user_sgpr_count 6
		.amdhsa_user_sgpr_private_segment_buffer 1
		.amdhsa_user_sgpr_dispatch_ptr 0
		.amdhsa_user_sgpr_queue_ptr 0
		.amdhsa_user_sgpr_kernarg_segment_ptr 1
		.amdhsa_user_sgpr_dispatch_id 0
		.amdhsa_user_sgpr_flat_scratch_init 0
		.amdhsa_user_sgpr_private_segment_size 0
		.amdhsa_uses_dynamic_stack 0
		.amdhsa_system_sgpr_private_segment_wavefront_offset 0
		.amdhsa_system_sgpr_workgroup_id_x 1
		.amdhsa_system_sgpr_workgroup_id_y 0
		.amdhsa_system_sgpr_workgroup_id_z 0
		.amdhsa_system_sgpr_workgroup_info 0
		.amdhsa_system_vgpr_workitem_id 0
		.amdhsa_next_free_vgpr 34
		.amdhsa_next_free_sgpr 34
		.amdhsa_reserve_vcc 1
		.amdhsa_reserve_flat_scratch 0
		.amdhsa_float_round_mode_32 0
		.amdhsa_float_round_mode_16_64 0
		.amdhsa_float_denorm_mode_32 3
		.amdhsa_float_denorm_mode_16_64 3
		.amdhsa_dx10_clamp 1
		.amdhsa_ieee_mode 1
		.amdhsa_fp16_overflow 0
		.amdhsa_exception_fp_ieee_invalid_op 0
		.amdhsa_exception_fp_denorm_src 0
		.amdhsa_exception_fp_ieee_div_zero 0
		.amdhsa_exception_fp_ieee_overflow 0
		.amdhsa_exception_fp_ieee_underflow 0
		.amdhsa_exception_fp_ieee_inexact 0
		.amdhsa_exception_int_div_zero 0
	.end_amdhsa_kernel
	.section	.text._ZN9rocsparseL29bsrmmnt_small_blockdim_kernelILj64ELj16ELj2EllaaffEEv20rocsparse_direction_T3_S2_llNS_24const_host_device_scalarIT7_EEPKT2_PKS2_PKT4_PKT5_llS5_PT6_ll16rocsparse_order_21rocsparse_index_base_b,"axG",@progbits,_ZN9rocsparseL29bsrmmnt_small_blockdim_kernelILj64ELj16ELj2EllaaffEEv20rocsparse_direction_T3_S2_llNS_24const_host_device_scalarIT7_EEPKT2_PKS2_PKT4_PKT5_llS5_PT6_ll16rocsparse_order_21rocsparse_index_base_b,comdat
.Lfunc_end102:
	.size	_ZN9rocsparseL29bsrmmnt_small_blockdim_kernelILj64ELj16ELj2EllaaffEEv20rocsparse_direction_T3_S2_llNS_24const_host_device_scalarIT7_EEPKT2_PKS2_PKT4_PKT5_llS5_PT6_ll16rocsparse_order_21rocsparse_index_base_b, .Lfunc_end102-_ZN9rocsparseL29bsrmmnt_small_blockdim_kernelILj64ELj16ELj2EllaaffEEv20rocsparse_direction_T3_S2_llNS_24const_host_device_scalarIT7_EEPKT2_PKS2_PKT4_PKT5_llS5_PT6_ll16rocsparse_order_21rocsparse_index_base_b
                                        ; -- End function
	.set _ZN9rocsparseL29bsrmmnt_small_blockdim_kernelILj64ELj16ELj2EllaaffEEv20rocsparse_direction_T3_S2_llNS_24const_host_device_scalarIT7_EEPKT2_PKS2_PKT4_PKT5_llS5_PT6_ll16rocsparse_order_21rocsparse_index_base_b.num_vgpr, 34
	.set _ZN9rocsparseL29bsrmmnt_small_blockdim_kernelILj64ELj16ELj2EllaaffEEv20rocsparse_direction_T3_S2_llNS_24const_host_device_scalarIT7_EEPKT2_PKS2_PKT4_PKT5_llS5_PT6_ll16rocsparse_order_21rocsparse_index_base_b.num_agpr, 0
	.set _ZN9rocsparseL29bsrmmnt_small_blockdim_kernelILj64ELj16ELj2EllaaffEEv20rocsparse_direction_T3_S2_llNS_24const_host_device_scalarIT7_EEPKT2_PKS2_PKT4_PKT5_llS5_PT6_ll16rocsparse_order_21rocsparse_index_base_b.numbered_sgpr, 34
	.set _ZN9rocsparseL29bsrmmnt_small_blockdim_kernelILj64ELj16ELj2EllaaffEEv20rocsparse_direction_T3_S2_llNS_24const_host_device_scalarIT7_EEPKT2_PKS2_PKT4_PKT5_llS5_PT6_ll16rocsparse_order_21rocsparse_index_base_b.num_named_barrier, 0
	.set _ZN9rocsparseL29bsrmmnt_small_blockdim_kernelILj64ELj16ELj2EllaaffEEv20rocsparse_direction_T3_S2_llNS_24const_host_device_scalarIT7_EEPKT2_PKS2_PKT4_PKT5_llS5_PT6_ll16rocsparse_order_21rocsparse_index_base_b.private_seg_size, 0
	.set _ZN9rocsparseL29bsrmmnt_small_blockdim_kernelILj64ELj16ELj2EllaaffEEv20rocsparse_direction_T3_S2_llNS_24const_host_device_scalarIT7_EEPKT2_PKS2_PKT4_PKT5_llS5_PT6_ll16rocsparse_order_21rocsparse_index_base_b.uses_vcc, 1
	.set _ZN9rocsparseL29bsrmmnt_small_blockdim_kernelILj64ELj16ELj2EllaaffEEv20rocsparse_direction_T3_S2_llNS_24const_host_device_scalarIT7_EEPKT2_PKS2_PKT4_PKT5_llS5_PT6_ll16rocsparse_order_21rocsparse_index_base_b.uses_flat_scratch, 0
	.set _ZN9rocsparseL29bsrmmnt_small_blockdim_kernelILj64ELj16ELj2EllaaffEEv20rocsparse_direction_T3_S2_llNS_24const_host_device_scalarIT7_EEPKT2_PKS2_PKT4_PKT5_llS5_PT6_ll16rocsparse_order_21rocsparse_index_base_b.has_dyn_sized_stack, 0
	.set _ZN9rocsparseL29bsrmmnt_small_blockdim_kernelILj64ELj16ELj2EllaaffEEv20rocsparse_direction_T3_S2_llNS_24const_host_device_scalarIT7_EEPKT2_PKS2_PKT4_PKT5_llS5_PT6_ll16rocsparse_order_21rocsparse_index_base_b.has_recursion, 0
	.set _ZN9rocsparseL29bsrmmnt_small_blockdim_kernelILj64ELj16ELj2EllaaffEEv20rocsparse_direction_T3_S2_llNS_24const_host_device_scalarIT7_EEPKT2_PKS2_PKT4_PKT5_llS5_PT6_ll16rocsparse_order_21rocsparse_index_base_b.has_indirect_call, 0
	.section	.AMDGPU.csdata,"",@progbits
; Kernel info:
; codeLenInByte = 1388
; TotalNumSgprs: 38
; NumVgprs: 34
; ScratchSize: 0
; MemoryBound: 0
; FloatMode: 240
; IeeeMode: 1
; LDSByteSize: 704 bytes/workgroup (compile time only)
; SGPRBlocks: 4
; VGPRBlocks: 8
; NumSGPRsForWavesPerEU: 38
; NumVGPRsForWavesPerEU: 34
; Occupancy: 7
; WaveLimiterHint : 1
; COMPUTE_PGM_RSRC2:SCRATCH_EN: 0
; COMPUTE_PGM_RSRC2:USER_SGPR: 6
; COMPUTE_PGM_RSRC2:TRAP_HANDLER: 0
; COMPUTE_PGM_RSRC2:TGID_X_EN: 1
; COMPUTE_PGM_RSRC2:TGID_Y_EN: 0
; COMPUTE_PGM_RSRC2:TGID_Z_EN: 0
; COMPUTE_PGM_RSRC2:TIDIG_COMP_CNT: 0
	.section	.text._ZN9rocsparseL29bsrmmnt_small_blockdim_kernelILj64ELj32ELj2EllaaffEEv20rocsparse_direction_T3_S2_llNS_24const_host_device_scalarIT7_EEPKT2_PKS2_PKT4_PKT5_llS5_PT6_ll16rocsparse_order_21rocsparse_index_base_b,"axG",@progbits,_ZN9rocsparseL29bsrmmnt_small_blockdim_kernelILj64ELj32ELj2EllaaffEEv20rocsparse_direction_T3_S2_llNS_24const_host_device_scalarIT7_EEPKT2_PKS2_PKT4_PKT5_llS5_PT6_ll16rocsparse_order_21rocsparse_index_base_b,comdat
	.globl	_ZN9rocsparseL29bsrmmnt_small_blockdim_kernelILj64ELj32ELj2EllaaffEEv20rocsparse_direction_T3_S2_llNS_24const_host_device_scalarIT7_EEPKT2_PKS2_PKT4_PKT5_llS5_PT6_ll16rocsparse_order_21rocsparse_index_base_b ; -- Begin function _ZN9rocsparseL29bsrmmnt_small_blockdim_kernelILj64ELj32ELj2EllaaffEEv20rocsparse_direction_T3_S2_llNS_24const_host_device_scalarIT7_EEPKT2_PKS2_PKT4_PKT5_llS5_PT6_ll16rocsparse_order_21rocsparse_index_base_b
	.p2align	8
	.type	_ZN9rocsparseL29bsrmmnt_small_blockdim_kernelILj64ELj32ELj2EllaaffEEv20rocsparse_direction_T3_S2_llNS_24const_host_device_scalarIT7_EEPKT2_PKS2_PKT4_PKT5_llS5_PT6_ll16rocsparse_order_21rocsparse_index_base_b,@function
_ZN9rocsparseL29bsrmmnt_small_blockdim_kernelILj64ELj32ELj2EllaaffEEv20rocsparse_direction_T3_S2_llNS_24const_host_device_scalarIT7_EEPKT2_PKS2_PKT4_PKT5_llS5_PT6_ll16rocsparse_order_21rocsparse_index_base_b: ; @_ZN9rocsparseL29bsrmmnt_small_blockdim_kernelILj64ELj32ELj2EllaaffEEv20rocsparse_direction_T3_S2_llNS_24const_host_device_scalarIT7_EEPKT2_PKS2_PKT4_PKT5_llS5_PT6_ll16rocsparse_order_21rocsparse_index_base_b
; %bb.0:
	s_load_dwordx4 s[0:3], s[4:5], 0x80
	s_load_dwordx2 s[24:25], s[4:5], 0x28
	s_load_dwordx2 s[26:27], s[4:5], 0x60
	s_waitcnt lgkmcnt(0)
	s_bitcmp1_b32 s2, 0
	s_cselect_b64 s[8:9], -1, 0
	s_xor_b64 s[2:3], s[8:9], -1
	s_and_b64 vcc, exec, s[8:9]
	s_cbranch_vccnz .LBB103_2
; %bb.1:
	s_load_dword s24, s[24:25], 0x0
.LBB103_2:
	s_andn2_b64 vcc, exec, s[2:3]
	s_cbranch_vccnz .LBB103_4
; %bb.3:
	s_load_dword s26, s[26:27], 0x0
.LBB103_4:
	s_waitcnt lgkmcnt(0)
	v_cmp_eq_f32_e64 s[2:3], s24, 0
	v_cmp_eq_f32_e64 s[8:9], s26, 1.0
	s_and_b64 s[2:3], s[2:3], s[8:9]
	s_and_b64 vcc, exec, s[2:3]
	s_cbranch_vccnz .LBB103_30
; %bb.5:
	s_load_dword s2, s[4:5], 0x9c
	s_load_dwordx4 s[16:19], s[4:5], 0x8
	v_mov_b32_e32 v2, 0
	s_waitcnt lgkmcnt(0)
	s_and_b32 s2, s2, 0xffff
	s_mul_i32 s6, s6, s2
	v_add_u32_e32 v3, s6, v0
	v_lshrrev_b32_e32 v1, 6, v3
	v_cmp_gt_i64_e32 vcc, s[16:17], v[1:2]
	s_and_saveexec_b64 s[2:3], vcc
	s_cbranch_execz .LBB103_30
; %bb.6:
	v_cmp_lt_i64_e64 s[2:3], s[18:19], 1
	s_and_b64 vcc, exec, s[2:3]
	s_cbranch_vccnz .LBB103_30
; %bb.7:
	s_load_dwordx8 s[8:15], s[4:5], 0x30
	v_lshlrev_b32_e32 v1, 3, v1
	v_lshrrev_b32_e32 v10, 5, v3
	v_and_b32_e32 v14, 31, v0
	v_lshrrev_b32_e32 v0, 5, v0
	s_waitcnt lgkmcnt(0)
	global_load_dwordx4 v[4:7], v1, s[8:9]
	s_load_dword s2, s[4:5], 0x0
	s_load_dwordx4 s[20:23], s[4:5], 0x68
	s_load_dwordx2 s[6:7], s[4:5], 0x50
	v_bfe_u32 v1, v3, 5, 1
	v_lshlrev_b32_e32 v15, 8, v0
	s_waitcnt lgkmcnt(0)
	s_cmp_eq_u32 s2, 0
	v_mad_u64_u32 v[8:9], s[2:3], v10, s22, 0
	v_mul_u32_u24_e32 v0, 0x60, v0
	v_lshlrev_b32_e32 v3, 2, v10
	v_or_b32_e32 v16, 0x200, v0
	v_mov_b32_e32 v0, s21
	s_cselect_b64 s[2:3], -1, 0
	v_add_co_u32_e32 v17, vcc, s20, v3
	v_mov_b32_e32 v2, 0
	v_addc_co_u32_e32 v18, vcc, 0, v0, vcc
	v_cndmask_b32_e64 v0, 0, 1, s[2:3]
	s_cmp_lg_u32 s0, 1
	v_lshlrev_b64 v[0:1], v0, v[1:2]
	v_mov_b32_e32 v2, v9
	s_cselect_b64 s[16:17], -1, 0
	s_and_b64 s[2:3], s[2:3], exec
	v_mad_u64_u32 v[2:3], s[2:3], v10, s23, v[2:3]
	v_mov_b32_e32 v13, s13
	v_add_co_u32_e32 v19, vcc, s12, v0
	v_mov_b32_e32 v9, v2
	v_addc_co_u32_e32 v20, vcc, v13, v1, vcc
	v_lshlrev_b64 v[0:1], 2, v[8:9]
	v_mov_b32_e32 v12, s21
	v_add_co_u32_e32 v21, vcc, s20, v0
	v_addc_co_u32_e32 v22, vcc, v12, v1, vcc
	s_mov_b32 s25, s1
	v_mul_u32_u24_e32 v11, 3, v14
	v_cmp_neq_f32_e64 s[8:9], s26, 0
	s_cselect_b32 s27, 1, 2
	s_mov_b64 s[12:13], 0
	v_add_u32_e32 v23, v16, v11
	s_waitcnt vmcnt(0)
	v_subrev_co_u32_e32 v0, vcc, s1, v4
	v_subbrev_co_u32_e32 v1, vcc, 0, v5, vcc
	v_subrev_co_u32_e32 v2, vcc, s1, v6
	v_cmp_lt_i64_e64 s[0:1], v[4:5], v[6:7]
	v_subbrev_co_u32_e32 v3, vcc, 0, v7, vcc
	s_branch .LBB103_9
.LBB103_8:                              ;   in Loop: Header=BB103_9 Depth=1
	s_or_b64 exec, exec, s[2:3]
	s_add_u32 s12, s12, 32
	v_mov_b32_e32 v4, s18
	s_addc_u32 s13, s13, 0
	v_mov_b32_e32 v5, s19
	v_cmp_lt_i64_e32 vcc, s[12:13], v[4:5]
	s_cbranch_vccz .LBB103_30
.LBB103_9:                              ; =>This Loop Header: Depth=1
                                        ;     Child Loop BB103_12 Depth 2
                                        ;       Child Loop BB103_16 Depth 3
	v_mov_b32_e32 v5, s13
	v_or_b32_e32 v4, s12, v14
	v_mov_b32_e32 v24, 0
	s_and_saveexec_b64 s[20:21], s[0:1]
	s_cbranch_execz .LBB103_18
; %bb.10:                               ;   in Loop: Header=BB103_9 Depth=1
	v_cmp_gt_i64_e32 vcc, s[18:19], v[4:5]
	v_mov_b32_e32 v7, s15
	v_add_co_u32_e64 v6, s[2:3], s14, v4
	v_mov_b32_e32 v9, v1
	v_addc_co_u32_e64 v7, s[2:3], v7, v5, s[2:3]
	v_mov_b32_e32 v24, 0
	s_mov_b64 s[28:29], 0
	v_mov_b32_e32 v8, v0
	s_branch .LBB103_12
.LBB103_11:                             ;   in Loop: Header=BB103_12 Depth=2
	s_or_b64 exec, exec, s[30:31]
	v_add_co_u32_e64 v8, s[2:3], 32, v8
	v_addc_co_u32_e64 v9, s[2:3], 0, v9, s[2:3]
	v_cmp_ge_i64_e64 s[2:3], v[8:9], v[2:3]
	s_or_b64 s[28:29], s[2:3], s[28:29]
	s_andn2_b64 exec, exec, s[28:29]
	s_cbranch_execz .LBB103_17
.LBB103_12:                             ;   Parent Loop BB103_9 Depth=1
                                        ; =>  This Loop Header: Depth=2
                                        ;       Child Loop BB103_16 Depth 3
	v_add_co_u32_e64 v10, s[2:3], v8, v14
	v_addc_co_u32_e64 v11, s[2:3], 0, v9, s[2:3]
	v_cmp_lt_i64_e64 s[2:3], v[10:11], v[2:3]
	v_mov_b32_e32 v12, 0
	v_mov_b32_e32 v13, 0
	;; [unrolled: 1-line block ×4, first 2 shown]
	s_and_saveexec_b64 s[4:5], s[2:3]
	s_cbranch_execz .LBB103_14
; %bb.13:                               ;   in Loop: Header=BB103_12 Depth=2
	v_lshlrev_b64 v[12:13], 3, v[10:11]
	v_mov_b32_e32 v25, s11
	v_add_co_u32_e64 v12, s[2:3], s10, v12
	v_addc_co_u32_e64 v13, s[2:3], v25, v13, s[2:3]
	v_lshlrev_b64 v[10:11], 2, v[10:11]
	global_load_dwordx2 v[12:13], v[12:13], off
	v_add_co_u32_e64 v10, s[2:3], v19, v10
	v_addc_co_u32_e64 v11, s[2:3], v20, v11, s[2:3]
	v_add_co_u32_e64 v27, s[2:3], s27, v10
	v_addc_co_u32_e64 v28, s[2:3], 0, v11, s[2:3]
	global_load_ubyte v25, v[10:11], off
	global_load_ubyte v26, v[27:28], off
	s_waitcnt vmcnt(2)
	v_subrev_co_u32_e64 v10, s[2:3], s25, v12
	v_subbrev_co_u32_e64 v11, s[2:3], 0, v13, s[2:3]
	v_lshlrev_b64 v[12:13], 1, v[10:11]
.LBB103_14:                             ;   in Loop: Header=BB103_12 Depth=2
	s_or_b64 exec, exec, s[4:5]
	v_lshl_or_b32 v10, v14, 3, v15
	ds_write_b64 v10, v[12:13]
	s_waitcnt vmcnt(1)
	ds_write_b8 v23, v25
	s_waitcnt vmcnt(0)
	ds_write_b8 v23, v26 offset:1
	s_waitcnt lgkmcnt(0)
	; wave barrier
	s_and_saveexec_b64 s[30:31], vcc
	s_cbranch_execz .LBB103_11
; %bb.15:                               ;   in Loop: Header=BB103_12 Depth=2
	s_mov_b32 s33, 0
	v_mov_b32_e32 v10, v15
.LBB103_16:                             ;   Parent Loop BB103_9 Depth=1
                                        ;     Parent Loop BB103_12 Depth=2
                                        ; =>    This Inner Loop Header: Depth=3
	ds_read_b128 v[25:28], v10
	v_mov_b32_e32 v13, s7
	v_add_u32_e32 v10, 16, v10
	s_waitcnt lgkmcnt(0)
	v_mad_u64_u32 v[11:12], s[2:3], v25, s6, v[6:7]
	v_mul_lo_u32 v29, v25, s7
	v_mul_lo_u32 v30, v26, s6
	v_mad_u64_u32 v[25:26], s[2:3], v27, s6, v[6:7]
	v_mul_lo_u32 v27, v27, s7
	v_mul_lo_u32 v28, v28, s6
	v_add3_u32 v12, v30, v12, v29
	v_add_co_u32_e64 v29, s[4:5], s6, v11
	v_add3_u32 v26, v28, v26, v27
	v_add_co_u32_e64 v27, s[2:3], s6, v25
	v_addc_co_u32_e64 v30, s[4:5], v12, v13, s[4:5]
	v_addc_co_u32_e64 v28, s[2:3], v26, v13, s[2:3]
	global_load_sbyte v13, v[11:12], off
	global_load_sbyte v31, v[29:30], off
	;; [unrolled: 1-line block ×4, first 2 shown]
	v_add_u32_e32 v11, s33, v16
	ds_read_u16 v12, v11
	ds_read_i8 v25, v11 offset:3
	ds_read_i8 v11, v11 offset:4
	s_add_i32 s33, s33, 6
	s_cmpk_lg_i32 s33, 0x60
	s_waitcnt lgkmcnt(2)
	v_bfe_i32 v26, v12, 0, 8
	v_ashrrev_i16_e32 v12, 8, v12
	v_cvt_f32_i32_sdwa v26, sext(v26) dst_sel:DWORD dst_unused:UNUSED_PAD src0_sel:WORD_0
	v_cvt_f32_i32_sdwa v12, sext(v12) dst_sel:DWORD dst_unused:UNUSED_PAD src0_sel:WORD_0
	s_waitcnt lgkmcnt(1)
	v_cvt_f32_i32_e32 v25, v25
	s_waitcnt lgkmcnt(0)
	v_cvt_f32_i32_e32 v11, v11
	s_waitcnt vmcnt(3)
	v_cvt_f32_i32_e32 v13, v13
	s_waitcnt vmcnt(2)
	;; [unrolled: 2-line block ×4, first 2 shown]
	v_cvt_f32_i32_e32 v29, v33
	v_fmac_f32_e32 v24, v26, v13
	v_fmac_f32_e32 v24, v12, v27
	;; [unrolled: 1-line block ×4, first 2 shown]
	s_cbranch_scc1 .LBB103_16
	s_branch .LBB103_11
.LBB103_17:                             ;   in Loop: Header=BB103_9 Depth=1
	s_or_b64 exec, exec, s[28:29]
.LBB103_18:                             ;   in Loop: Header=BB103_9 Depth=1
	s_or_b64 exec, exec, s[20:21]
	v_cmp_gt_i64_e32 vcc, s[18:19], v[4:5]
	s_and_saveexec_b64 s[2:3], vcc
	s_cbranch_execz .LBB103_8
; %bb.19:                               ;   in Loop: Header=BB103_9 Depth=1
	s_mov_b64 s[4:5], -1
	s_and_b64 vcc, exec, s[8:9]
	s_cbranch_vccz .LBB103_25
; %bb.20:                               ;   in Loop: Header=BB103_9 Depth=1
	s_and_b64 vcc, exec, s[16:17]
	s_cbranch_vccz .LBB103_22
; %bb.21:                               ;   in Loop: Header=BB103_9 Depth=1
	v_lshlrev_b64 v[6:7], 2, v[4:5]
	v_mul_f32_e32 v9, s24, v24
	v_add_co_u32_e32 v6, vcc, v21, v6
	v_addc_co_u32_e32 v7, vcc, v22, v7, vcc
	global_load_dword v8, v[6:7], off
	s_mov_b64 s[4:5], 0
	s_waitcnt vmcnt(0)
	v_fmac_f32_e32 v9, s26, v8
	global_store_dword v[6:7], v9, off
.LBB103_22:                             ;   in Loop: Header=BB103_9 Depth=1
	s_andn2_b64 vcc, exec, s[4:5]
	s_cbranch_vccnz .LBB103_24
; %bb.23:                               ;   in Loop: Header=BB103_9 Depth=1
	v_mul_lo_u32 v8, v5, s22
	v_mul_lo_u32 v9, v4, s23
	v_mad_u64_u32 v[6:7], s[4:5], v4, s22, 0
	v_add3_u32 v7, v7, v9, v8
	v_lshlrev_b64 v[6:7], 2, v[6:7]
	v_mul_f32_e32 v9, s24, v24
	v_add_co_u32_e32 v6, vcc, v17, v6
	v_addc_co_u32_e32 v7, vcc, v18, v7, vcc
	global_load_dword v8, v[6:7], off
	s_waitcnt vmcnt(0)
	v_fmac_f32_e32 v9, s26, v8
	global_store_dword v[6:7], v9, off
.LBB103_24:                             ;   in Loop: Header=BB103_9 Depth=1
	s_mov_b64 s[4:5], 0
.LBB103_25:                             ;   in Loop: Header=BB103_9 Depth=1
	s_andn2_b64 vcc, exec, s[4:5]
	s_cbranch_vccnz .LBB103_8
; %bb.26:                               ;   in Loop: Header=BB103_9 Depth=1
	v_mul_f32_e32 v6, s24, v24
	s_mov_b64 s[4:5], -1
	s_and_b64 vcc, exec, s[16:17]
	s_cbranch_vccz .LBB103_28
; %bb.27:                               ;   in Loop: Header=BB103_9 Depth=1
	v_lshlrev_b64 v[7:8], 2, v[4:5]
	s_mov_b64 s[4:5], 0
	v_add_co_u32_e32 v7, vcc, v21, v7
	v_addc_co_u32_e32 v8, vcc, v22, v8, vcc
	global_store_dword v[7:8], v6, off
.LBB103_28:                             ;   in Loop: Header=BB103_9 Depth=1
	s_andn2_b64 vcc, exec, s[4:5]
	s_cbranch_vccnz .LBB103_8
; %bb.29:                               ;   in Loop: Header=BB103_9 Depth=1
	v_mul_lo_u32 v7, v5, s22
	v_mul_lo_u32 v8, v4, s23
	v_mad_u64_u32 v[4:5], s[4:5], v4, s22, 0
	v_add3_u32 v5, v5, v8, v7
	v_lshlrev_b64 v[4:5], 2, v[4:5]
	v_add_co_u32_e32 v4, vcc, v17, v4
	v_addc_co_u32_e32 v5, vcc, v18, v5, vcc
	global_store_dword v[4:5], v6, off
	s_branch .LBB103_8
.LBB103_30:
	s_endpgm
	.section	.rodata,"a",@progbits
	.p2align	6, 0x0
	.amdhsa_kernel _ZN9rocsparseL29bsrmmnt_small_blockdim_kernelILj64ELj32ELj2EllaaffEEv20rocsparse_direction_T3_S2_llNS_24const_host_device_scalarIT7_EEPKT2_PKS2_PKT4_PKT5_llS5_PT6_ll16rocsparse_order_21rocsparse_index_base_b
		.amdhsa_group_segment_fixed_size 704
		.amdhsa_private_segment_fixed_size 0
		.amdhsa_kernarg_size 400
		.amdhsa_user_sgpr_count 6
		.amdhsa_user_sgpr_private_segment_buffer 1
		.amdhsa_user_sgpr_dispatch_ptr 0
		.amdhsa_user_sgpr_queue_ptr 0
		.amdhsa_user_sgpr_kernarg_segment_ptr 1
		.amdhsa_user_sgpr_dispatch_id 0
		.amdhsa_user_sgpr_flat_scratch_init 0
		.amdhsa_user_sgpr_private_segment_size 0
		.amdhsa_uses_dynamic_stack 0
		.amdhsa_system_sgpr_private_segment_wavefront_offset 0
		.amdhsa_system_sgpr_workgroup_id_x 1
		.amdhsa_system_sgpr_workgroup_id_y 0
		.amdhsa_system_sgpr_workgroup_id_z 0
		.amdhsa_system_sgpr_workgroup_info 0
		.amdhsa_system_vgpr_workitem_id 0
		.amdhsa_next_free_vgpr 34
		.amdhsa_next_free_sgpr 34
		.amdhsa_reserve_vcc 1
		.amdhsa_reserve_flat_scratch 0
		.amdhsa_float_round_mode_32 0
		.amdhsa_float_round_mode_16_64 0
		.amdhsa_float_denorm_mode_32 3
		.amdhsa_float_denorm_mode_16_64 3
		.amdhsa_dx10_clamp 1
		.amdhsa_ieee_mode 1
		.amdhsa_fp16_overflow 0
		.amdhsa_exception_fp_ieee_invalid_op 0
		.amdhsa_exception_fp_denorm_src 0
		.amdhsa_exception_fp_ieee_div_zero 0
		.amdhsa_exception_fp_ieee_overflow 0
		.amdhsa_exception_fp_ieee_underflow 0
		.amdhsa_exception_fp_ieee_inexact 0
		.amdhsa_exception_int_div_zero 0
	.end_amdhsa_kernel
	.section	.text._ZN9rocsparseL29bsrmmnt_small_blockdim_kernelILj64ELj32ELj2EllaaffEEv20rocsparse_direction_T3_S2_llNS_24const_host_device_scalarIT7_EEPKT2_PKS2_PKT4_PKT5_llS5_PT6_ll16rocsparse_order_21rocsparse_index_base_b,"axG",@progbits,_ZN9rocsparseL29bsrmmnt_small_blockdim_kernelILj64ELj32ELj2EllaaffEEv20rocsparse_direction_T3_S2_llNS_24const_host_device_scalarIT7_EEPKT2_PKS2_PKT4_PKT5_llS5_PT6_ll16rocsparse_order_21rocsparse_index_base_b,comdat
.Lfunc_end103:
	.size	_ZN9rocsparseL29bsrmmnt_small_blockdim_kernelILj64ELj32ELj2EllaaffEEv20rocsparse_direction_T3_S2_llNS_24const_host_device_scalarIT7_EEPKT2_PKS2_PKT4_PKT5_llS5_PT6_ll16rocsparse_order_21rocsparse_index_base_b, .Lfunc_end103-_ZN9rocsparseL29bsrmmnt_small_blockdim_kernelILj64ELj32ELj2EllaaffEEv20rocsparse_direction_T3_S2_llNS_24const_host_device_scalarIT7_EEPKT2_PKS2_PKT4_PKT5_llS5_PT6_ll16rocsparse_order_21rocsparse_index_base_b
                                        ; -- End function
	.set _ZN9rocsparseL29bsrmmnt_small_blockdim_kernelILj64ELj32ELj2EllaaffEEv20rocsparse_direction_T3_S2_llNS_24const_host_device_scalarIT7_EEPKT2_PKS2_PKT4_PKT5_llS5_PT6_ll16rocsparse_order_21rocsparse_index_base_b.num_vgpr, 34
	.set _ZN9rocsparseL29bsrmmnt_small_blockdim_kernelILj64ELj32ELj2EllaaffEEv20rocsparse_direction_T3_S2_llNS_24const_host_device_scalarIT7_EEPKT2_PKS2_PKT4_PKT5_llS5_PT6_ll16rocsparse_order_21rocsparse_index_base_b.num_agpr, 0
	.set _ZN9rocsparseL29bsrmmnt_small_blockdim_kernelILj64ELj32ELj2EllaaffEEv20rocsparse_direction_T3_S2_llNS_24const_host_device_scalarIT7_EEPKT2_PKS2_PKT4_PKT5_llS5_PT6_ll16rocsparse_order_21rocsparse_index_base_b.numbered_sgpr, 34
	.set _ZN9rocsparseL29bsrmmnt_small_blockdim_kernelILj64ELj32ELj2EllaaffEEv20rocsparse_direction_T3_S2_llNS_24const_host_device_scalarIT7_EEPKT2_PKS2_PKT4_PKT5_llS5_PT6_ll16rocsparse_order_21rocsparse_index_base_b.num_named_barrier, 0
	.set _ZN9rocsparseL29bsrmmnt_small_blockdim_kernelILj64ELj32ELj2EllaaffEEv20rocsparse_direction_T3_S2_llNS_24const_host_device_scalarIT7_EEPKT2_PKS2_PKT4_PKT5_llS5_PT6_ll16rocsparse_order_21rocsparse_index_base_b.private_seg_size, 0
	.set _ZN9rocsparseL29bsrmmnt_small_blockdim_kernelILj64ELj32ELj2EllaaffEEv20rocsparse_direction_T3_S2_llNS_24const_host_device_scalarIT7_EEPKT2_PKS2_PKT4_PKT5_llS5_PT6_ll16rocsparse_order_21rocsparse_index_base_b.uses_vcc, 1
	.set _ZN9rocsparseL29bsrmmnt_small_blockdim_kernelILj64ELj32ELj2EllaaffEEv20rocsparse_direction_T3_S2_llNS_24const_host_device_scalarIT7_EEPKT2_PKS2_PKT4_PKT5_llS5_PT6_ll16rocsparse_order_21rocsparse_index_base_b.uses_flat_scratch, 0
	.set _ZN9rocsparseL29bsrmmnt_small_blockdim_kernelILj64ELj32ELj2EllaaffEEv20rocsparse_direction_T3_S2_llNS_24const_host_device_scalarIT7_EEPKT2_PKS2_PKT4_PKT5_llS5_PT6_ll16rocsparse_order_21rocsparse_index_base_b.has_dyn_sized_stack, 0
	.set _ZN9rocsparseL29bsrmmnt_small_blockdim_kernelILj64ELj32ELj2EllaaffEEv20rocsparse_direction_T3_S2_llNS_24const_host_device_scalarIT7_EEPKT2_PKS2_PKT4_PKT5_llS5_PT6_ll16rocsparse_order_21rocsparse_index_base_b.has_recursion, 0
	.set _ZN9rocsparseL29bsrmmnt_small_blockdim_kernelILj64ELj32ELj2EllaaffEEv20rocsparse_direction_T3_S2_llNS_24const_host_device_scalarIT7_EEPKT2_PKS2_PKT4_PKT5_llS5_PT6_ll16rocsparse_order_21rocsparse_index_base_b.has_indirect_call, 0
	.section	.AMDGPU.csdata,"",@progbits
; Kernel info:
; codeLenInByte = 1392
; TotalNumSgprs: 38
; NumVgprs: 34
; ScratchSize: 0
; MemoryBound: 0
; FloatMode: 240
; IeeeMode: 1
; LDSByteSize: 704 bytes/workgroup (compile time only)
; SGPRBlocks: 4
; VGPRBlocks: 8
; NumSGPRsForWavesPerEU: 38
; NumVGPRsForWavesPerEU: 34
; Occupancy: 7
; WaveLimiterHint : 1
; COMPUTE_PGM_RSRC2:SCRATCH_EN: 0
; COMPUTE_PGM_RSRC2:USER_SGPR: 6
; COMPUTE_PGM_RSRC2:TRAP_HANDLER: 0
; COMPUTE_PGM_RSRC2:TGID_X_EN: 1
; COMPUTE_PGM_RSRC2:TGID_Y_EN: 0
; COMPUTE_PGM_RSRC2:TGID_Z_EN: 0
; COMPUTE_PGM_RSRC2:TIDIG_COMP_CNT: 0
	.section	.text._ZN9rocsparseL29bsrmmnt_small_blockdim_kernelILj64ELj64ELj2EllaaffEEv20rocsparse_direction_T3_S2_llNS_24const_host_device_scalarIT7_EEPKT2_PKS2_PKT4_PKT5_llS5_PT6_ll16rocsparse_order_21rocsparse_index_base_b,"axG",@progbits,_ZN9rocsparseL29bsrmmnt_small_blockdim_kernelILj64ELj64ELj2EllaaffEEv20rocsparse_direction_T3_S2_llNS_24const_host_device_scalarIT7_EEPKT2_PKS2_PKT4_PKT5_llS5_PT6_ll16rocsparse_order_21rocsparse_index_base_b,comdat
	.globl	_ZN9rocsparseL29bsrmmnt_small_blockdim_kernelILj64ELj64ELj2EllaaffEEv20rocsparse_direction_T3_S2_llNS_24const_host_device_scalarIT7_EEPKT2_PKS2_PKT4_PKT5_llS5_PT6_ll16rocsparse_order_21rocsparse_index_base_b ; -- Begin function _ZN9rocsparseL29bsrmmnt_small_blockdim_kernelILj64ELj64ELj2EllaaffEEv20rocsparse_direction_T3_S2_llNS_24const_host_device_scalarIT7_EEPKT2_PKS2_PKT4_PKT5_llS5_PT6_ll16rocsparse_order_21rocsparse_index_base_b
	.p2align	8
	.type	_ZN9rocsparseL29bsrmmnt_small_blockdim_kernelILj64ELj64ELj2EllaaffEEv20rocsparse_direction_T3_S2_llNS_24const_host_device_scalarIT7_EEPKT2_PKS2_PKT4_PKT5_llS5_PT6_ll16rocsparse_order_21rocsparse_index_base_b,@function
_ZN9rocsparseL29bsrmmnt_small_blockdim_kernelILj64ELj64ELj2EllaaffEEv20rocsparse_direction_T3_S2_llNS_24const_host_device_scalarIT7_EEPKT2_PKS2_PKT4_PKT5_llS5_PT6_ll16rocsparse_order_21rocsparse_index_base_b: ; @_ZN9rocsparseL29bsrmmnt_small_blockdim_kernelILj64ELj64ELj2EllaaffEEv20rocsparse_direction_T3_S2_llNS_24const_host_device_scalarIT7_EEPKT2_PKS2_PKT4_PKT5_llS5_PT6_ll16rocsparse_order_21rocsparse_index_base_b
; %bb.0:
	s_load_dwordx4 s[0:3], s[4:5], 0x80
	s_load_dwordx2 s[24:25], s[4:5], 0x28
	s_load_dwordx2 s[26:27], s[4:5], 0x60
	s_waitcnt lgkmcnt(0)
	s_bitcmp1_b32 s2, 0
	s_cselect_b64 s[8:9], -1, 0
	s_xor_b64 s[2:3], s[8:9], -1
	s_and_b64 vcc, exec, s[8:9]
	s_cbranch_vccnz .LBB104_2
; %bb.1:
	s_load_dword s24, s[24:25], 0x0
.LBB104_2:
	s_andn2_b64 vcc, exec, s[2:3]
	s_cbranch_vccnz .LBB104_4
; %bb.3:
	s_load_dword s26, s[26:27], 0x0
.LBB104_4:
	s_waitcnt lgkmcnt(0)
	v_cmp_eq_f32_e64 s[2:3], s24, 0
	v_cmp_eq_f32_e64 s[8:9], s26, 1.0
	s_and_b64 s[2:3], s[2:3], s[8:9]
	s_and_b64 vcc, exec, s[2:3]
	s_cbranch_vccnz .LBB104_30
; %bb.5:
	s_load_dword s2, s[4:5], 0x9c
	s_load_dwordx4 s[16:19], s[4:5], 0x8
	v_mov_b32_e32 v2, 0
	s_waitcnt lgkmcnt(0)
	s_and_b32 s2, s2, 0xffff
	s_mul_i32 s6, s6, s2
	v_add_u32_e32 v3, s6, v0
	v_lshrrev_b32_e32 v1, 7, v3
	v_cmp_gt_i64_e32 vcc, s[16:17], v[1:2]
	s_and_saveexec_b64 s[2:3], vcc
	s_cbranch_execz .LBB104_30
; %bb.6:
	v_cmp_lt_i64_e64 s[2:3], s[18:19], 1
	s_and_b64 vcc, exec, s[2:3]
	s_cbranch_vccnz .LBB104_30
; %bb.7:
	s_load_dwordx8 s[8:15], s[4:5], 0x30
	v_lshlrev_b32_e32 v1, 3, v1
	v_lshrrev_b32_e32 v9, 6, v3
	v_lshlrev_b32_e32 v10, 2, v9
	v_mov_b32_e32 v2, 0
	s_waitcnt lgkmcnt(0)
	global_load_dwordx4 v[5:8], v1, s[8:9]
	s_load_dword s2, s[4:5], 0x0
	s_load_dwordx4 s[20:23], s[4:5], 0x68
	s_load_dwordx2 s[6:7], s[4:5], 0x50
	v_bfe_u32 v1, v3, 6, 1
	v_mov_b32_e32 v14, s13
	s_waitcnt lgkmcnt(0)
	s_cmp_eq_u32 s2, 0
	v_mad_u64_u32 v[3:4], s[2:3], v9, s22, 0
	s_cselect_b64 s[2:3], -1, 0
	s_cmp_lg_u32 s0, 1
	v_add_co_u32_e32 v17, vcc, s20, v10
	v_cndmask_b32_e64 v10, 0, 1, s[2:3]
	s_cselect_b64 s[16:17], -1, 0
	v_lshlrev_b64 v[1:2], v10, v[1:2]
	s_and_b64 s[2:3], s[2:3], exec
	v_mov_b32_e32 v13, s21
	v_addc_co_u32_e32 v18, vcc, 0, v13, vcc
	v_add_co_u32_e32 v19, vcc, s12, v1
	v_addc_co_u32_e32 v20, vcc, v14, v2, vcc
	v_mov_b32_e32 v12, s21
	s_mov_b32 s25, s1
	v_mul_u32_u24_e32 v11, 3, v0
	v_lshlrev_b32_e32 v15, 3, v0
	v_mov_b32_e32 v16, 0x200
	v_cmp_neq_f32_e64 s[8:9], s26, 0
	s_cselect_b32 s27, 1, 2
	s_mov_b64 s[12:13], 0
	v_add_u32_e32 v23, 0x200, v11
	s_waitcnt vmcnt(0)
	v_mad_u64_u32 v[9:10], s[2:3], v9, s23, v[4:5]
	v_mov_b32_e32 v4, v9
	v_lshlrev_b64 v[1:2], 2, v[3:4]
	v_add_co_u32_e32 v21, vcc, s20, v1
	v_addc_co_u32_e32 v22, vcc, v12, v2, vcc
	v_subrev_co_u32_e32 v1, vcc, s1, v5
	v_subbrev_co_u32_e32 v2, vcc, 0, v6, vcc
	v_subrev_co_u32_e32 v3, vcc, s1, v7
	v_cmp_lt_i64_e64 s[0:1], v[5:6], v[7:8]
	v_subbrev_co_u32_e32 v4, vcc, 0, v8, vcc
	s_branch .LBB104_9
.LBB104_8:                              ;   in Loop: Header=BB104_9 Depth=1
	s_or_b64 exec, exec, s[2:3]
	s_add_u32 s12, s12, 64
	v_mov_b32_e32 v5, s18
	s_addc_u32 s13, s13, 0
	v_mov_b32_e32 v6, s19
	v_cmp_lt_i64_e32 vcc, s[12:13], v[5:6]
	s_cbranch_vccz .LBB104_30
.LBB104_9:                              ; =>This Loop Header: Depth=1
                                        ;     Child Loop BB104_12 Depth 2
                                        ;       Child Loop BB104_16 Depth 3
	v_mov_b32_e32 v6, s13
	v_or_b32_e32 v5, s12, v0
	v_mov_b32_e32 v24, 0
	s_and_saveexec_b64 s[20:21], s[0:1]
	s_cbranch_execz .LBB104_18
; %bb.10:                               ;   in Loop: Header=BB104_9 Depth=1
	v_cmp_gt_i64_e32 vcc, s[18:19], v[5:6]
	v_mov_b32_e32 v8, s15
	v_add_co_u32_e64 v7, s[2:3], s14, v5
	v_mov_b32_e32 v10, v2
	v_addc_co_u32_e64 v8, s[2:3], v8, v6, s[2:3]
	v_mov_b32_e32 v24, 0
	s_mov_b64 s[28:29], 0
	v_mov_b32_e32 v9, v1
	s_branch .LBB104_12
.LBB104_11:                             ;   in Loop: Header=BB104_12 Depth=2
	s_or_b64 exec, exec, s[30:31]
	v_add_co_u32_e64 v9, s[2:3], 64, v9
	v_addc_co_u32_e64 v10, s[2:3], 0, v10, s[2:3]
	v_cmp_ge_i64_e64 s[2:3], v[9:10], v[3:4]
	s_or_b64 s[28:29], s[2:3], s[28:29]
	s_andn2_b64 exec, exec, s[28:29]
	s_cbranch_execz .LBB104_17
.LBB104_12:                             ;   Parent Loop BB104_9 Depth=1
                                        ; =>  This Loop Header: Depth=2
                                        ;       Child Loop BB104_16 Depth 3
	v_add_co_u32_e64 v11, s[2:3], v9, v0
	v_addc_co_u32_e64 v12, s[2:3], 0, v10, s[2:3]
	v_cmp_lt_i64_e64 s[2:3], v[11:12], v[3:4]
	v_mov_b32_e32 v13, 0
	v_mov_b32_e32 v14, 0
	;; [unrolled: 1-line block ×4, first 2 shown]
	s_and_saveexec_b64 s[4:5], s[2:3]
	s_cbranch_execz .LBB104_14
; %bb.13:                               ;   in Loop: Header=BB104_12 Depth=2
	v_lshlrev_b64 v[13:14], 3, v[11:12]
	v_mov_b32_e32 v25, s11
	v_add_co_u32_e64 v13, s[2:3], s10, v13
	v_addc_co_u32_e64 v14, s[2:3], v25, v14, s[2:3]
	v_lshlrev_b64 v[11:12], 2, v[11:12]
	global_load_dwordx2 v[13:14], v[13:14], off
	v_add_co_u32_e64 v11, s[2:3], v19, v11
	v_addc_co_u32_e64 v12, s[2:3], v20, v12, s[2:3]
	v_add_co_u32_e64 v27, s[2:3], s27, v11
	v_addc_co_u32_e64 v28, s[2:3], 0, v12, s[2:3]
	global_load_ubyte v25, v[11:12], off
	global_load_ubyte v26, v[27:28], off
	s_waitcnt vmcnt(2)
	v_subrev_co_u32_e64 v11, s[2:3], s25, v13
	v_subbrev_co_u32_e64 v12, s[2:3], 0, v14, s[2:3]
	v_lshlrev_b64 v[13:14], 1, v[11:12]
.LBB104_14:                             ;   in Loop: Header=BB104_12 Depth=2
	s_or_b64 exec, exec, s[4:5]
	ds_write_b64 v15, v[13:14]
	s_waitcnt vmcnt(1)
	ds_write_b8 v23, v25
	s_waitcnt vmcnt(0)
	ds_write_b8 v23, v26 offset:1
	s_waitcnt lgkmcnt(0)
	; wave barrier
	s_and_saveexec_b64 s[30:31], vcc
	s_cbranch_execz .LBB104_11
; %bb.15:                               ;   in Loop: Header=BB104_12 Depth=2
	s_mov_b32 s33, 0
	v_mov_b32_e32 v11, 0
.LBB104_16:                             ;   Parent Loop BB104_9 Depth=1
                                        ;     Parent Loop BB104_12 Depth=2
                                        ; =>    This Inner Loop Header: Depth=3
	ds_read_b128 v[25:28], v11
	v_mov_b32_e32 v14, s7
	v_add_u32_e32 v11, 16, v11
	s_waitcnt lgkmcnt(0)
	v_mad_u64_u32 v[12:13], s[2:3], v25, s6, v[7:8]
	v_mul_lo_u32 v29, v25, s7
	v_mul_lo_u32 v30, v26, s6
	v_mad_u64_u32 v[25:26], s[2:3], v27, s6, v[7:8]
	v_mul_lo_u32 v27, v27, s7
	v_mul_lo_u32 v28, v28, s6
	v_add3_u32 v13, v30, v13, v29
	v_add_co_u32_e64 v29, s[4:5], s6, v12
	v_add3_u32 v26, v28, v26, v27
	v_add_co_u32_e64 v27, s[2:3], s6, v25
	v_addc_co_u32_e64 v30, s[4:5], v13, v14, s[4:5]
	v_addc_co_u32_e64 v28, s[2:3], v26, v14, s[2:3]
	global_load_sbyte v14, v[12:13], off
	global_load_sbyte v31, v[29:30], off
	;; [unrolled: 1-line block ×4, first 2 shown]
	v_add_u32_e32 v12, s33, v16
	ds_read_u16 v13, v12
	ds_read_i8 v25, v12 offset:3
	ds_read_i8 v12, v12 offset:4
	s_add_i32 s33, s33, 6
	s_cmpk_lg_i32 s33, 0xc0
	s_waitcnt lgkmcnt(2)
	v_bfe_i32 v26, v13, 0, 8
	v_ashrrev_i16_e32 v13, 8, v13
	v_cvt_f32_i32_sdwa v26, sext(v26) dst_sel:DWORD dst_unused:UNUSED_PAD src0_sel:WORD_0
	v_cvt_f32_i32_sdwa v13, sext(v13) dst_sel:DWORD dst_unused:UNUSED_PAD src0_sel:WORD_0
	s_waitcnt lgkmcnt(1)
	v_cvt_f32_i32_e32 v25, v25
	s_waitcnt lgkmcnt(0)
	v_cvt_f32_i32_e32 v12, v12
	s_waitcnt vmcnt(3)
	v_cvt_f32_i32_e32 v14, v14
	s_waitcnt vmcnt(2)
	v_cvt_f32_i32_e32 v27, v31
	s_waitcnt vmcnt(1)
	v_cvt_f32_i32_e32 v28, v32
	s_waitcnt vmcnt(0)
	v_cvt_f32_i32_e32 v29, v33
	v_fmac_f32_e32 v24, v26, v14
	v_fmac_f32_e32 v24, v13, v27
	;; [unrolled: 1-line block ×4, first 2 shown]
	s_cbranch_scc1 .LBB104_16
	s_branch .LBB104_11
.LBB104_17:                             ;   in Loop: Header=BB104_9 Depth=1
	s_or_b64 exec, exec, s[28:29]
.LBB104_18:                             ;   in Loop: Header=BB104_9 Depth=1
	s_or_b64 exec, exec, s[20:21]
	v_cmp_gt_i64_e32 vcc, s[18:19], v[5:6]
	s_and_saveexec_b64 s[2:3], vcc
	s_cbranch_execz .LBB104_8
; %bb.19:                               ;   in Loop: Header=BB104_9 Depth=1
	s_mov_b64 s[4:5], -1
	s_and_b64 vcc, exec, s[8:9]
	s_cbranch_vccz .LBB104_25
; %bb.20:                               ;   in Loop: Header=BB104_9 Depth=1
	s_and_b64 vcc, exec, s[16:17]
	s_cbranch_vccz .LBB104_22
; %bb.21:                               ;   in Loop: Header=BB104_9 Depth=1
	v_lshlrev_b64 v[7:8], 2, v[5:6]
	v_mul_f32_e32 v10, s24, v24
	v_add_co_u32_e32 v7, vcc, v21, v7
	v_addc_co_u32_e32 v8, vcc, v22, v8, vcc
	global_load_dword v9, v[7:8], off
	s_mov_b64 s[4:5], 0
	s_waitcnt vmcnt(0)
	v_fmac_f32_e32 v10, s26, v9
	global_store_dword v[7:8], v10, off
.LBB104_22:                             ;   in Loop: Header=BB104_9 Depth=1
	s_andn2_b64 vcc, exec, s[4:5]
	s_cbranch_vccnz .LBB104_24
; %bb.23:                               ;   in Loop: Header=BB104_9 Depth=1
	v_mul_lo_u32 v9, v6, s22
	v_mul_lo_u32 v10, v5, s23
	v_mad_u64_u32 v[7:8], s[4:5], v5, s22, 0
	v_add3_u32 v8, v8, v10, v9
	v_lshlrev_b64 v[7:8], 2, v[7:8]
	v_mul_f32_e32 v10, s24, v24
	v_add_co_u32_e32 v7, vcc, v17, v7
	v_addc_co_u32_e32 v8, vcc, v18, v8, vcc
	global_load_dword v9, v[7:8], off
	s_waitcnt vmcnt(0)
	v_fmac_f32_e32 v10, s26, v9
	global_store_dword v[7:8], v10, off
.LBB104_24:                             ;   in Loop: Header=BB104_9 Depth=1
	s_mov_b64 s[4:5], 0
.LBB104_25:                             ;   in Loop: Header=BB104_9 Depth=1
	s_andn2_b64 vcc, exec, s[4:5]
	s_cbranch_vccnz .LBB104_8
; %bb.26:                               ;   in Loop: Header=BB104_9 Depth=1
	v_mul_f32_e32 v7, s24, v24
	s_mov_b64 s[4:5], -1
	s_and_b64 vcc, exec, s[16:17]
	s_cbranch_vccz .LBB104_28
; %bb.27:                               ;   in Loop: Header=BB104_9 Depth=1
	v_lshlrev_b64 v[8:9], 2, v[5:6]
	s_mov_b64 s[4:5], 0
	v_add_co_u32_e32 v8, vcc, v21, v8
	v_addc_co_u32_e32 v9, vcc, v22, v9, vcc
	global_store_dword v[8:9], v7, off
.LBB104_28:                             ;   in Loop: Header=BB104_9 Depth=1
	s_andn2_b64 vcc, exec, s[4:5]
	s_cbranch_vccnz .LBB104_8
; %bb.29:                               ;   in Loop: Header=BB104_9 Depth=1
	v_mul_lo_u32 v8, v6, s22
	v_mul_lo_u32 v9, v5, s23
	v_mad_u64_u32 v[5:6], s[4:5], v5, s22, 0
	v_add3_u32 v6, v6, v9, v8
	v_lshlrev_b64 v[5:6], 2, v[5:6]
	v_add_co_u32_e32 v5, vcc, v17, v5
	v_addc_co_u32_e32 v6, vcc, v18, v6, vcc
	global_store_dword v[5:6], v7, off
	s_branch .LBB104_8
.LBB104_30:
	s_endpgm
	.section	.rodata,"a",@progbits
	.p2align	6, 0x0
	.amdhsa_kernel _ZN9rocsparseL29bsrmmnt_small_blockdim_kernelILj64ELj64ELj2EllaaffEEv20rocsparse_direction_T3_S2_llNS_24const_host_device_scalarIT7_EEPKT2_PKS2_PKT4_PKT5_llS5_PT6_ll16rocsparse_order_21rocsparse_index_base_b
		.amdhsa_group_segment_fixed_size 704
		.amdhsa_private_segment_fixed_size 0
		.amdhsa_kernarg_size 400
		.amdhsa_user_sgpr_count 6
		.amdhsa_user_sgpr_private_segment_buffer 1
		.amdhsa_user_sgpr_dispatch_ptr 0
		.amdhsa_user_sgpr_queue_ptr 0
		.amdhsa_user_sgpr_kernarg_segment_ptr 1
		.amdhsa_user_sgpr_dispatch_id 0
		.amdhsa_user_sgpr_flat_scratch_init 0
		.amdhsa_user_sgpr_private_segment_size 0
		.amdhsa_uses_dynamic_stack 0
		.amdhsa_system_sgpr_private_segment_wavefront_offset 0
		.amdhsa_system_sgpr_workgroup_id_x 1
		.amdhsa_system_sgpr_workgroup_id_y 0
		.amdhsa_system_sgpr_workgroup_id_z 0
		.amdhsa_system_sgpr_workgroup_info 0
		.amdhsa_system_vgpr_workitem_id 0
		.amdhsa_next_free_vgpr 34
		.amdhsa_next_free_sgpr 34
		.amdhsa_reserve_vcc 1
		.amdhsa_reserve_flat_scratch 0
		.amdhsa_float_round_mode_32 0
		.amdhsa_float_round_mode_16_64 0
		.amdhsa_float_denorm_mode_32 3
		.amdhsa_float_denorm_mode_16_64 3
		.amdhsa_dx10_clamp 1
		.amdhsa_ieee_mode 1
		.amdhsa_fp16_overflow 0
		.amdhsa_exception_fp_ieee_invalid_op 0
		.amdhsa_exception_fp_denorm_src 0
		.amdhsa_exception_fp_ieee_div_zero 0
		.amdhsa_exception_fp_ieee_overflow 0
		.amdhsa_exception_fp_ieee_underflow 0
		.amdhsa_exception_fp_ieee_inexact 0
		.amdhsa_exception_int_div_zero 0
	.end_amdhsa_kernel
	.section	.text._ZN9rocsparseL29bsrmmnt_small_blockdim_kernelILj64ELj64ELj2EllaaffEEv20rocsparse_direction_T3_S2_llNS_24const_host_device_scalarIT7_EEPKT2_PKS2_PKT4_PKT5_llS5_PT6_ll16rocsparse_order_21rocsparse_index_base_b,"axG",@progbits,_ZN9rocsparseL29bsrmmnt_small_blockdim_kernelILj64ELj64ELj2EllaaffEEv20rocsparse_direction_T3_S2_llNS_24const_host_device_scalarIT7_EEPKT2_PKS2_PKT4_PKT5_llS5_PT6_ll16rocsparse_order_21rocsparse_index_base_b,comdat
.Lfunc_end104:
	.size	_ZN9rocsparseL29bsrmmnt_small_blockdim_kernelILj64ELj64ELj2EllaaffEEv20rocsparse_direction_T3_S2_llNS_24const_host_device_scalarIT7_EEPKT2_PKS2_PKT4_PKT5_llS5_PT6_ll16rocsparse_order_21rocsparse_index_base_b, .Lfunc_end104-_ZN9rocsparseL29bsrmmnt_small_blockdim_kernelILj64ELj64ELj2EllaaffEEv20rocsparse_direction_T3_S2_llNS_24const_host_device_scalarIT7_EEPKT2_PKS2_PKT4_PKT5_llS5_PT6_ll16rocsparse_order_21rocsparse_index_base_b
                                        ; -- End function
	.set _ZN9rocsparseL29bsrmmnt_small_blockdim_kernelILj64ELj64ELj2EllaaffEEv20rocsparse_direction_T3_S2_llNS_24const_host_device_scalarIT7_EEPKT2_PKS2_PKT4_PKT5_llS5_PT6_ll16rocsparse_order_21rocsparse_index_base_b.num_vgpr, 34
	.set _ZN9rocsparseL29bsrmmnt_small_blockdim_kernelILj64ELj64ELj2EllaaffEEv20rocsparse_direction_T3_S2_llNS_24const_host_device_scalarIT7_EEPKT2_PKS2_PKT4_PKT5_llS5_PT6_ll16rocsparse_order_21rocsparse_index_base_b.num_agpr, 0
	.set _ZN9rocsparseL29bsrmmnt_small_blockdim_kernelILj64ELj64ELj2EllaaffEEv20rocsparse_direction_T3_S2_llNS_24const_host_device_scalarIT7_EEPKT2_PKS2_PKT4_PKT5_llS5_PT6_ll16rocsparse_order_21rocsparse_index_base_b.numbered_sgpr, 34
	.set _ZN9rocsparseL29bsrmmnt_small_blockdim_kernelILj64ELj64ELj2EllaaffEEv20rocsparse_direction_T3_S2_llNS_24const_host_device_scalarIT7_EEPKT2_PKS2_PKT4_PKT5_llS5_PT6_ll16rocsparse_order_21rocsparse_index_base_b.num_named_barrier, 0
	.set _ZN9rocsparseL29bsrmmnt_small_blockdim_kernelILj64ELj64ELj2EllaaffEEv20rocsparse_direction_T3_S2_llNS_24const_host_device_scalarIT7_EEPKT2_PKS2_PKT4_PKT5_llS5_PT6_ll16rocsparse_order_21rocsparse_index_base_b.private_seg_size, 0
	.set _ZN9rocsparseL29bsrmmnt_small_blockdim_kernelILj64ELj64ELj2EllaaffEEv20rocsparse_direction_T3_S2_llNS_24const_host_device_scalarIT7_EEPKT2_PKS2_PKT4_PKT5_llS5_PT6_ll16rocsparse_order_21rocsparse_index_base_b.uses_vcc, 1
	.set _ZN9rocsparseL29bsrmmnt_small_blockdim_kernelILj64ELj64ELj2EllaaffEEv20rocsparse_direction_T3_S2_llNS_24const_host_device_scalarIT7_EEPKT2_PKS2_PKT4_PKT5_llS5_PT6_ll16rocsparse_order_21rocsparse_index_base_b.uses_flat_scratch, 0
	.set _ZN9rocsparseL29bsrmmnt_small_blockdim_kernelILj64ELj64ELj2EllaaffEEv20rocsparse_direction_T3_S2_llNS_24const_host_device_scalarIT7_EEPKT2_PKS2_PKT4_PKT5_llS5_PT6_ll16rocsparse_order_21rocsparse_index_base_b.has_dyn_sized_stack, 0
	.set _ZN9rocsparseL29bsrmmnt_small_blockdim_kernelILj64ELj64ELj2EllaaffEEv20rocsparse_direction_T3_S2_llNS_24const_host_device_scalarIT7_EEPKT2_PKS2_PKT4_PKT5_llS5_PT6_ll16rocsparse_order_21rocsparse_index_base_b.has_recursion, 0
	.set _ZN9rocsparseL29bsrmmnt_small_blockdim_kernelILj64ELj64ELj2EllaaffEEv20rocsparse_direction_T3_S2_llNS_24const_host_device_scalarIT7_EEPKT2_PKS2_PKT4_PKT5_llS5_PT6_ll16rocsparse_order_21rocsparse_index_base_b.has_indirect_call, 0
	.section	.AMDGPU.csdata,"",@progbits
; Kernel info:
; codeLenInByte = 1368
; TotalNumSgprs: 38
; NumVgprs: 34
; ScratchSize: 0
; MemoryBound: 0
; FloatMode: 240
; IeeeMode: 1
; LDSByteSize: 704 bytes/workgroup (compile time only)
; SGPRBlocks: 4
; VGPRBlocks: 8
; NumSGPRsForWavesPerEU: 38
; NumVGPRsForWavesPerEU: 34
; Occupancy: 7
; WaveLimiterHint : 1
; COMPUTE_PGM_RSRC2:SCRATCH_EN: 0
; COMPUTE_PGM_RSRC2:USER_SGPR: 6
; COMPUTE_PGM_RSRC2:TRAP_HANDLER: 0
; COMPUTE_PGM_RSRC2:TGID_X_EN: 1
; COMPUTE_PGM_RSRC2:TGID_Y_EN: 0
; COMPUTE_PGM_RSRC2:TGID_Z_EN: 0
; COMPUTE_PGM_RSRC2:TIDIG_COMP_CNT: 0
	.section	.AMDGPU.gpr_maximums,"",@progbits
	.set amdgpu.max_num_vgpr, 0
	.set amdgpu.max_num_agpr, 0
	.set amdgpu.max_num_sgpr, 0
	.section	.AMDGPU.csdata,"",@progbits
	.type	__hip_cuid_2efdcfeb73802cc,@object ; @__hip_cuid_2efdcfeb73802cc
	.section	.bss,"aw",@nobits
	.globl	__hip_cuid_2efdcfeb73802cc
__hip_cuid_2efdcfeb73802cc:
	.byte	0                               ; 0x0
	.size	__hip_cuid_2efdcfeb73802cc, 1

	.ident	"AMD clang version 22.0.0git (https://github.com/RadeonOpenCompute/llvm-project roc-7.2.4 26084 f58b06dce1f9c15707c5f808fd002e18c2accf7e)"
	.section	".note.GNU-stack","",@progbits
	.addrsig
	.addrsig_sym __hip_cuid_2efdcfeb73802cc
	.amdgpu_metadata
---
amdhsa.kernels:
  - .args:
      - .offset:         0
        .size:           4
        .value_kind:     by_value
      - .offset:         4
        .size:           4
        .value_kind:     by_value
      - .offset:         8
        .size:           4
        .value_kind:     by_value
      - .offset:         16
        .size:           8
        .value_kind:     by_value
      - .offset:         24
        .size:           8
        .value_kind:     by_value
      - .offset:         32
        .size:           8
        .value_kind:     by_value
      - .actual_access:  read_only
        .address_space:  global
        .offset:         40
        .size:           8
        .value_kind:     global_buffer
      - .actual_access:  read_only
        .address_space:  global
        .offset:         48
        .size:           8
        .value_kind:     global_buffer
      - .actual_access:  read_only
        .address_space:  global
        .offset:         56
        .size:           8
        .value_kind:     global_buffer
      - .actual_access:  read_only
        .address_space:  global
        .offset:         64
        .size:           8
        .value_kind:     global_buffer
      - .offset:         72
        .size:           8
        .value_kind:     by_value
      - .offset:         80
        .size:           8
        .value_kind:     by_value
      - .offset:         88
        .size:           8
        .value_kind:     by_value
      - .address_space:  global
        .offset:         96
        .size:           8
        .value_kind:     global_buffer
      - .offset:         104
        .size:           8
        .value_kind:     by_value
      - .offset:         112
        .size:           8
        .value_kind:     by_value
      - .offset:         120
        .size:           4
        .value_kind:     by_value
      - .offset:         124
        .size:           4
        .value_kind:     by_value
      - .offset:         128
        .size:           1
        .value_kind:     by_value
      - .offset:         136
        .size:           4
        .value_kind:     hidden_block_count_x
      - .offset:         140
        .size:           4
        .value_kind:     hidden_block_count_y
      - .offset:         144
        .size:           4
        .value_kind:     hidden_block_count_z
      - .offset:         148
        .size:           2
        .value_kind:     hidden_group_size_x
      - .offset:         150
        .size:           2
        .value_kind:     hidden_group_size_y
      - .offset:         152
        .size:           2
        .value_kind:     hidden_group_size_z
      - .offset:         154
        .size:           2
        .value_kind:     hidden_remainder_x
      - .offset:         156
        .size:           2
        .value_kind:     hidden_remainder_y
      - .offset:         158
        .size:           2
        .value_kind:     hidden_remainder_z
      - .offset:         176
        .size:           8
        .value_kind:     hidden_global_offset_x
      - .offset:         184
        .size:           8
        .value_kind:     hidden_global_offset_y
      - .offset:         192
        .size:           8
        .value_kind:     hidden_global_offset_z
      - .offset:         200
        .size:           2
        .value_kind:     hidden_grid_dims
    .group_segment_fixed_size: 1024
    .kernarg_segment_align: 8
    .kernarg_segment_size: 392
    .language:       OpenCL C
    .language_version:
      - 2
      - 0
    .max_flat_workgroup_size: 64
    .name:           _ZN9rocsparseL29bsrmmnn_small_blockdim_kernelILj64ELj8ELj2EiiffffEEv20rocsparse_direction_T3_S2_llNS_24const_host_device_scalarIT7_EEPKT2_PKS2_PKT4_PKT5_llS5_PT6_ll16rocsparse_order_21rocsparse_index_base_b
    .private_segment_fixed_size: 0
    .sgpr_count:     36
    .sgpr_spill_count: 0
    .symbol:         _ZN9rocsparseL29bsrmmnn_small_blockdim_kernelILj64ELj8ELj2EiiffffEEv20rocsparse_direction_T3_S2_llNS_24const_host_device_scalarIT7_EEPKT2_PKS2_PKT4_PKT5_llS5_PT6_ll16rocsparse_order_21rocsparse_index_base_b.kd
    .uniform_work_group_size: 1
    .uses_dynamic_stack: false
    .vgpr_count:     48
    .vgpr_spill_count: 0
    .wavefront_size: 64
  - .args:
      - .offset:         0
        .size:           4
        .value_kind:     by_value
      - .offset:         4
        .size:           4
        .value_kind:     by_value
      - .offset:         8
        .size:           4
        .value_kind:     by_value
      - .offset:         16
        .size:           8
        .value_kind:     by_value
      - .offset:         24
        .size:           8
        .value_kind:     by_value
      - .offset:         32
        .size:           8
        .value_kind:     by_value
      - .actual_access:  read_only
        .address_space:  global
        .offset:         40
        .size:           8
        .value_kind:     global_buffer
      - .actual_access:  read_only
        .address_space:  global
        .offset:         48
        .size:           8
        .value_kind:     global_buffer
      - .actual_access:  read_only
        .address_space:  global
        .offset:         56
        .size:           8
        .value_kind:     global_buffer
      - .actual_access:  read_only
        .address_space:  global
        .offset:         64
        .size:           8
        .value_kind:     global_buffer
      - .offset:         72
        .size:           8
        .value_kind:     by_value
      - .offset:         80
        .size:           8
        .value_kind:     by_value
      - .offset:         88
        .size:           8
        .value_kind:     by_value
      - .address_space:  global
        .offset:         96
        .size:           8
        .value_kind:     global_buffer
      - .offset:         104
        .size:           8
        .value_kind:     by_value
      - .offset:         112
        .size:           8
        .value_kind:     by_value
      - .offset:         120
        .size:           4
        .value_kind:     by_value
      - .offset:         124
        .size:           4
        .value_kind:     by_value
      - .offset:         128
        .size:           1
        .value_kind:     by_value
      - .offset:         136
        .size:           4
        .value_kind:     hidden_block_count_x
      - .offset:         140
        .size:           4
        .value_kind:     hidden_block_count_y
      - .offset:         144
        .size:           4
        .value_kind:     hidden_block_count_z
      - .offset:         148
        .size:           2
        .value_kind:     hidden_group_size_x
      - .offset:         150
        .size:           2
        .value_kind:     hidden_group_size_y
      - .offset:         152
        .size:           2
        .value_kind:     hidden_group_size_z
      - .offset:         154
        .size:           2
        .value_kind:     hidden_remainder_x
      - .offset:         156
        .size:           2
        .value_kind:     hidden_remainder_y
      - .offset:         158
        .size:           2
        .value_kind:     hidden_remainder_z
      - .offset:         176
        .size:           8
        .value_kind:     hidden_global_offset_x
      - .offset:         184
        .size:           8
        .value_kind:     hidden_global_offset_y
      - .offset:         192
        .size:           8
        .value_kind:     hidden_global_offset_z
      - .offset:         200
        .size:           2
        .value_kind:     hidden_grid_dims
    .group_segment_fixed_size: 1024
    .kernarg_segment_align: 8
    .kernarg_segment_size: 392
    .language:       OpenCL C
    .language_version:
      - 2
      - 0
    .max_flat_workgroup_size: 64
    .name:           _ZN9rocsparseL29bsrmmnn_small_blockdim_kernelILj64ELj8ELj2EliffffEEv20rocsparse_direction_T3_S2_llNS_24const_host_device_scalarIT7_EEPKT2_PKS2_PKT4_PKT5_llS5_PT6_ll16rocsparse_order_21rocsparse_index_base_b
    .private_segment_fixed_size: 0
    .sgpr_count:     36
    .sgpr_spill_count: 0
    .symbol:         _ZN9rocsparseL29bsrmmnn_small_blockdim_kernelILj64ELj8ELj2EliffffEEv20rocsparse_direction_T3_S2_llNS_24const_host_device_scalarIT7_EEPKT2_PKS2_PKT4_PKT5_llS5_PT6_ll16rocsparse_order_21rocsparse_index_base_b.kd
    .uniform_work_group_size: 1
    .uses_dynamic_stack: false
    .vgpr_count:     45
    .vgpr_spill_count: 0
    .wavefront_size: 64
  - .args:
      - .offset:         0
        .size:           4
        .value_kind:     by_value
      - .offset:         8
        .size:           8
        .value_kind:     by_value
      - .offset:         16
        .size:           8
        .value_kind:     by_value
      - .offset:         24
        .size:           8
        .value_kind:     by_value
      - .offset:         32
        .size:           8
        .value_kind:     by_value
      - .offset:         40
        .size:           8
        .value_kind:     by_value
      - .actual_access:  read_only
        .address_space:  global
        .offset:         48
        .size:           8
        .value_kind:     global_buffer
      - .actual_access:  read_only
        .address_space:  global
        .offset:         56
        .size:           8
        .value_kind:     global_buffer
      - .actual_access:  read_only
        .address_space:  global
        .offset:         64
        .size:           8
        .value_kind:     global_buffer
      - .actual_access:  read_only
        .address_space:  global
        .offset:         72
        .size:           8
        .value_kind:     global_buffer
      - .offset:         80
        .size:           8
        .value_kind:     by_value
      - .offset:         88
        .size:           8
        .value_kind:     by_value
      - .offset:         96
        .size:           8
        .value_kind:     by_value
      - .address_space:  global
        .offset:         104
        .size:           8
        .value_kind:     global_buffer
      - .offset:         112
        .size:           8
        .value_kind:     by_value
      - .offset:         120
        .size:           8
        .value_kind:     by_value
      - .offset:         128
        .size:           4
        .value_kind:     by_value
      - .offset:         132
        .size:           4
        .value_kind:     by_value
      - .offset:         136
        .size:           1
        .value_kind:     by_value
      - .offset:         144
        .size:           4
        .value_kind:     hidden_block_count_x
      - .offset:         148
        .size:           4
        .value_kind:     hidden_block_count_y
      - .offset:         152
        .size:           4
        .value_kind:     hidden_block_count_z
      - .offset:         156
        .size:           2
        .value_kind:     hidden_group_size_x
      - .offset:         158
        .size:           2
        .value_kind:     hidden_group_size_y
      - .offset:         160
        .size:           2
        .value_kind:     hidden_group_size_z
      - .offset:         162
        .size:           2
        .value_kind:     hidden_remainder_x
      - .offset:         164
        .size:           2
        .value_kind:     hidden_remainder_y
      - .offset:         166
        .size:           2
        .value_kind:     hidden_remainder_z
      - .offset:         184
        .size:           8
        .value_kind:     hidden_global_offset_x
      - .offset:         192
        .size:           8
        .value_kind:     hidden_global_offset_y
      - .offset:         200
        .size:           8
        .value_kind:     hidden_global_offset_z
      - .offset:         208
        .size:           2
        .value_kind:     hidden_grid_dims
    .group_segment_fixed_size: 1280
    .kernarg_segment_align: 8
    .kernarg_segment_size: 400
    .language:       OpenCL C
    .language_version:
      - 2
      - 0
    .max_flat_workgroup_size: 64
    .name:           _ZN9rocsparseL29bsrmmnn_small_blockdim_kernelILj64ELj8ELj2EllffffEEv20rocsparse_direction_T3_S2_llNS_24const_host_device_scalarIT7_EEPKT2_PKS2_PKT4_PKT5_llS5_PT6_ll16rocsparse_order_21rocsparse_index_base_b
    .private_segment_fixed_size: 0
    .sgpr_count:     34
    .sgpr_spill_count: 0
    .symbol:         _ZN9rocsparseL29bsrmmnn_small_blockdim_kernelILj64ELj8ELj2EllffffEEv20rocsparse_direction_T3_S2_llNS_24const_host_device_scalarIT7_EEPKT2_PKS2_PKT4_PKT5_llS5_PT6_ll16rocsparse_order_21rocsparse_index_base_b.kd
    .uniform_work_group_size: 1
    .uses_dynamic_stack: false
    .vgpr_count:     55
    .vgpr_spill_count: 0
    .wavefront_size: 64
  - .args:
      - .offset:         0
        .size:           4
        .value_kind:     by_value
      - .offset:         4
        .size:           4
        .value_kind:     by_value
      - .offset:         8
        .size:           4
        .value_kind:     by_value
      - .offset:         16
        .size:           8
        .value_kind:     by_value
      - .offset:         24
        .size:           8
        .value_kind:     by_value
      - .offset:         32
        .size:           8
        .value_kind:     by_value
      - .actual_access:  read_only
        .address_space:  global
        .offset:         40
        .size:           8
        .value_kind:     global_buffer
      - .actual_access:  read_only
        .address_space:  global
        .offset:         48
        .size:           8
        .value_kind:     global_buffer
      - .actual_access:  read_only
        .address_space:  global
        .offset:         56
        .size:           8
        .value_kind:     global_buffer
      - .actual_access:  read_only
        .address_space:  global
        .offset:         64
        .size:           8
        .value_kind:     global_buffer
      - .offset:         72
        .size:           8
        .value_kind:     by_value
      - .offset:         80
        .size:           8
        .value_kind:     by_value
      - .offset:         88
        .size:           8
        .value_kind:     by_value
      - .address_space:  global
        .offset:         96
        .size:           8
        .value_kind:     global_buffer
      - .offset:         104
        .size:           8
        .value_kind:     by_value
      - .offset:         112
        .size:           8
        .value_kind:     by_value
      - .offset:         120
        .size:           4
        .value_kind:     by_value
      - .offset:         124
        .size:           4
        .value_kind:     by_value
      - .offset:         128
        .size:           1
        .value_kind:     by_value
      - .offset:         136
        .size:           4
        .value_kind:     hidden_block_count_x
      - .offset:         140
        .size:           4
        .value_kind:     hidden_block_count_y
      - .offset:         144
        .size:           4
        .value_kind:     hidden_block_count_z
      - .offset:         148
        .size:           2
        .value_kind:     hidden_group_size_x
      - .offset:         150
        .size:           2
        .value_kind:     hidden_group_size_y
      - .offset:         152
        .size:           2
        .value_kind:     hidden_group_size_z
      - .offset:         154
        .size:           2
        .value_kind:     hidden_remainder_x
      - .offset:         156
        .size:           2
        .value_kind:     hidden_remainder_y
      - .offset:         158
        .size:           2
        .value_kind:     hidden_remainder_z
      - .offset:         176
        .size:           8
        .value_kind:     hidden_global_offset_x
      - .offset:         184
        .size:           8
        .value_kind:     hidden_global_offset_y
      - .offset:         192
        .size:           8
        .value_kind:     hidden_global_offset_z
      - .offset:         200
        .size:           2
        .value_kind:     hidden_grid_dims
    .group_segment_fixed_size: 1792
    .kernarg_segment_align: 8
    .kernarg_segment_size: 392
    .language:       OpenCL C
    .language_version:
      - 2
      - 0
    .max_flat_workgroup_size: 64
    .name:           _ZN9rocsparseL29bsrmmnn_small_blockdim_kernelILj64ELj8ELj2EiiddddEEv20rocsparse_direction_T3_S2_llNS_24const_host_device_scalarIT7_EEPKT2_PKS2_PKT4_PKT5_llS5_PT6_ll16rocsparse_order_21rocsparse_index_base_b
    .private_segment_fixed_size: 0
    .sgpr_count:     32
    .sgpr_spill_count: 0
    .symbol:         _ZN9rocsparseL29bsrmmnn_small_blockdim_kernelILj64ELj8ELj2EiiddddEEv20rocsparse_direction_T3_S2_llNS_24const_host_device_scalarIT7_EEPKT2_PKS2_PKT4_PKT5_llS5_PT6_ll16rocsparse_order_21rocsparse_index_base_b.kd
    .uniform_work_group_size: 1
    .uses_dynamic_stack: false
    .vgpr_count:     70
    .vgpr_spill_count: 0
    .wavefront_size: 64
  - .args:
      - .offset:         0
        .size:           4
        .value_kind:     by_value
      - .offset:         4
        .size:           4
        .value_kind:     by_value
      - .offset:         8
        .size:           4
        .value_kind:     by_value
      - .offset:         16
        .size:           8
        .value_kind:     by_value
      - .offset:         24
        .size:           8
        .value_kind:     by_value
      - .offset:         32
        .size:           8
        .value_kind:     by_value
      - .actual_access:  read_only
        .address_space:  global
        .offset:         40
        .size:           8
        .value_kind:     global_buffer
      - .actual_access:  read_only
        .address_space:  global
        .offset:         48
        .size:           8
        .value_kind:     global_buffer
      - .actual_access:  read_only
        .address_space:  global
        .offset:         56
        .size:           8
        .value_kind:     global_buffer
      - .actual_access:  read_only
        .address_space:  global
        .offset:         64
        .size:           8
        .value_kind:     global_buffer
      - .offset:         72
        .size:           8
        .value_kind:     by_value
      - .offset:         80
        .size:           8
        .value_kind:     by_value
      - .offset:         88
        .size:           8
        .value_kind:     by_value
      - .address_space:  global
        .offset:         96
        .size:           8
        .value_kind:     global_buffer
      - .offset:         104
        .size:           8
        .value_kind:     by_value
      - .offset:         112
        .size:           8
        .value_kind:     by_value
      - .offset:         120
        .size:           4
        .value_kind:     by_value
      - .offset:         124
        .size:           4
        .value_kind:     by_value
      - .offset:         128
        .size:           1
        .value_kind:     by_value
      - .offset:         136
        .size:           4
        .value_kind:     hidden_block_count_x
      - .offset:         140
        .size:           4
        .value_kind:     hidden_block_count_y
      - .offset:         144
        .size:           4
        .value_kind:     hidden_block_count_z
      - .offset:         148
        .size:           2
        .value_kind:     hidden_group_size_x
      - .offset:         150
        .size:           2
        .value_kind:     hidden_group_size_y
      - .offset:         152
        .size:           2
        .value_kind:     hidden_group_size_z
      - .offset:         154
        .size:           2
        .value_kind:     hidden_remainder_x
      - .offset:         156
        .size:           2
        .value_kind:     hidden_remainder_y
      - .offset:         158
        .size:           2
        .value_kind:     hidden_remainder_z
      - .offset:         176
        .size:           8
        .value_kind:     hidden_global_offset_x
      - .offset:         184
        .size:           8
        .value_kind:     hidden_global_offset_y
      - .offset:         192
        .size:           8
        .value_kind:     hidden_global_offset_z
      - .offset:         200
        .size:           2
        .value_kind:     hidden_grid_dims
    .group_segment_fixed_size: 1792
    .kernarg_segment_align: 8
    .kernarg_segment_size: 392
    .language:       OpenCL C
    .language_version:
      - 2
      - 0
    .max_flat_workgroup_size: 64
    .name:           _ZN9rocsparseL29bsrmmnn_small_blockdim_kernelILj64ELj8ELj2EliddddEEv20rocsparse_direction_T3_S2_llNS_24const_host_device_scalarIT7_EEPKT2_PKS2_PKT4_PKT5_llS5_PT6_ll16rocsparse_order_21rocsparse_index_base_b
    .private_segment_fixed_size: 0
    .sgpr_count:     33
    .sgpr_spill_count: 0
    .symbol:         _ZN9rocsparseL29bsrmmnn_small_blockdim_kernelILj64ELj8ELj2EliddddEEv20rocsparse_direction_T3_S2_llNS_24const_host_device_scalarIT7_EEPKT2_PKS2_PKT4_PKT5_llS5_PT6_ll16rocsparse_order_21rocsparse_index_base_b.kd
    .uniform_work_group_size: 1
    .uses_dynamic_stack: false
    .vgpr_count:     60
    .vgpr_spill_count: 0
    .wavefront_size: 64
  - .args:
      - .offset:         0
        .size:           4
        .value_kind:     by_value
      - .offset:         8
        .size:           8
        .value_kind:     by_value
      - .offset:         16
        .size:           8
        .value_kind:     by_value
      - .offset:         24
        .size:           8
        .value_kind:     by_value
      - .offset:         32
        .size:           8
        .value_kind:     by_value
      - .offset:         40
        .size:           8
        .value_kind:     by_value
      - .actual_access:  read_only
        .address_space:  global
        .offset:         48
        .size:           8
        .value_kind:     global_buffer
      - .actual_access:  read_only
        .address_space:  global
        .offset:         56
        .size:           8
        .value_kind:     global_buffer
      - .actual_access:  read_only
        .address_space:  global
        .offset:         64
        .size:           8
        .value_kind:     global_buffer
      - .actual_access:  read_only
        .address_space:  global
        .offset:         72
        .size:           8
        .value_kind:     global_buffer
      - .offset:         80
        .size:           8
        .value_kind:     by_value
      - .offset:         88
        .size:           8
        .value_kind:     by_value
      - .offset:         96
        .size:           8
        .value_kind:     by_value
      - .address_space:  global
        .offset:         104
        .size:           8
        .value_kind:     global_buffer
      - .offset:         112
        .size:           8
        .value_kind:     by_value
      - .offset:         120
        .size:           8
        .value_kind:     by_value
      - .offset:         128
        .size:           4
        .value_kind:     by_value
      - .offset:         132
        .size:           4
        .value_kind:     by_value
      - .offset:         136
        .size:           1
        .value_kind:     by_value
      - .offset:         144
        .size:           4
        .value_kind:     hidden_block_count_x
      - .offset:         148
        .size:           4
        .value_kind:     hidden_block_count_y
      - .offset:         152
        .size:           4
        .value_kind:     hidden_block_count_z
      - .offset:         156
        .size:           2
        .value_kind:     hidden_group_size_x
      - .offset:         158
        .size:           2
        .value_kind:     hidden_group_size_y
      - .offset:         160
        .size:           2
        .value_kind:     hidden_group_size_z
      - .offset:         162
        .size:           2
        .value_kind:     hidden_remainder_x
      - .offset:         164
        .size:           2
        .value_kind:     hidden_remainder_y
      - .offset:         166
        .size:           2
        .value_kind:     hidden_remainder_z
      - .offset:         184
        .size:           8
        .value_kind:     hidden_global_offset_x
      - .offset:         192
        .size:           8
        .value_kind:     hidden_global_offset_y
      - .offset:         200
        .size:           8
        .value_kind:     hidden_global_offset_z
      - .offset:         208
        .size:           2
        .value_kind:     hidden_grid_dims
    .group_segment_fixed_size: 2048
    .kernarg_segment_align: 8
    .kernarg_segment_size: 400
    .language:       OpenCL C
    .language_version:
      - 2
      - 0
    .max_flat_workgroup_size: 64
    .name:           _ZN9rocsparseL29bsrmmnn_small_blockdim_kernelILj64ELj8ELj2EllddddEEv20rocsparse_direction_T3_S2_llNS_24const_host_device_scalarIT7_EEPKT2_PKS2_PKT4_PKT5_llS5_PT6_ll16rocsparse_order_21rocsparse_index_base_b
    .private_segment_fixed_size: 0
    .sgpr_count:     32
    .sgpr_spill_count: 0
    .symbol:         _ZN9rocsparseL29bsrmmnn_small_blockdim_kernelILj64ELj8ELj2EllddddEEv20rocsparse_direction_T3_S2_llNS_24const_host_device_scalarIT7_EEPKT2_PKS2_PKT4_PKT5_llS5_PT6_ll16rocsparse_order_21rocsparse_index_base_b.kd
    .uniform_work_group_size: 1
    .uses_dynamic_stack: false
    .vgpr_count:     62
    .vgpr_spill_count: 0
    .wavefront_size: 64
  - .args:
      - .offset:         0
        .size:           4
        .value_kind:     by_value
      - .offset:         4
        .size:           4
        .value_kind:     by_value
      - .offset:         8
        .size:           4
        .value_kind:     by_value
      - .offset:         16
        .size:           8
        .value_kind:     by_value
      - .offset:         24
        .size:           8
        .value_kind:     by_value
      - .offset:         32
        .size:           8
        .value_kind:     by_value
      - .actual_access:  read_only
        .address_space:  global
        .offset:         40
        .size:           8
        .value_kind:     global_buffer
      - .actual_access:  read_only
        .address_space:  global
        .offset:         48
        .size:           8
        .value_kind:     global_buffer
      - .actual_access:  read_only
        .address_space:  global
        .offset:         56
        .size:           8
        .value_kind:     global_buffer
      - .actual_access:  read_only
        .address_space:  global
        .offset:         64
        .size:           8
        .value_kind:     global_buffer
      - .offset:         72
        .size:           8
        .value_kind:     by_value
      - .offset:         80
        .size:           8
        .value_kind:     by_value
      - .offset:         88
        .size:           8
        .value_kind:     by_value
      - .address_space:  global
        .offset:         96
        .size:           8
        .value_kind:     global_buffer
      - .offset:         104
        .size:           8
        .value_kind:     by_value
      - .offset:         112
        .size:           8
        .value_kind:     by_value
      - .offset:         120
        .size:           4
        .value_kind:     by_value
      - .offset:         124
        .size:           4
        .value_kind:     by_value
      - .offset:         128
        .size:           1
        .value_kind:     by_value
      - .offset:         136
        .size:           4
        .value_kind:     hidden_block_count_x
      - .offset:         140
        .size:           4
        .value_kind:     hidden_block_count_y
      - .offset:         144
        .size:           4
        .value_kind:     hidden_block_count_z
      - .offset:         148
        .size:           2
        .value_kind:     hidden_group_size_x
      - .offset:         150
        .size:           2
        .value_kind:     hidden_group_size_y
      - .offset:         152
        .size:           2
        .value_kind:     hidden_group_size_z
      - .offset:         154
        .size:           2
        .value_kind:     hidden_remainder_x
      - .offset:         156
        .size:           2
        .value_kind:     hidden_remainder_y
      - .offset:         158
        .size:           2
        .value_kind:     hidden_remainder_z
      - .offset:         176
        .size:           8
        .value_kind:     hidden_global_offset_x
      - .offset:         184
        .size:           8
        .value_kind:     hidden_global_offset_y
      - .offset:         192
        .size:           8
        .value_kind:     hidden_global_offset_z
      - .offset:         200
        .size:           2
        .value_kind:     hidden_grid_dims
    .group_segment_fixed_size: 1792
    .kernarg_segment_align: 8
    .kernarg_segment_size: 392
    .language:       OpenCL C
    .language_version:
      - 2
      - 0
    .max_flat_workgroup_size: 64
    .name:           _ZN9rocsparseL29bsrmmnn_small_blockdim_kernelILj64ELj8ELj2Eii21rocsparse_complex_numIfES2_S2_S2_EEv20rocsparse_direction_T3_S4_llNS_24const_host_device_scalarIT7_EEPKT2_PKS4_PKT4_PKT5_llS7_PT6_ll16rocsparse_order_21rocsparse_index_base_b
    .private_segment_fixed_size: 0
    .sgpr_count:     32
    .sgpr_spill_count: 0
    .symbol:         _ZN9rocsparseL29bsrmmnn_small_blockdim_kernelILj64ELj8ELj2Eii21rocsparse_complex_numIfES2_S2_S2_EEv20rocsparse_direction_T3_S4_llNS_24const_host_device_scalarIT7_EEPKT2_PKS4_PKT4_PKT5_llS7_PT6_ll16rocsparse_order_21rocsparse_index_base_b.kd
    .uniform_work_group_size: 1
    .uses_dynamic_stack: false
    .vgpr_count:     49
    .vgpr_spill_count: 0
    .wavefront_size: 64
  - .args:
      - .offset:         0
        .size:           4
        .value_kind:     by_value
      - .offset:         4
        .size:           4
        .value_kind:     by_value
      - .offset:         8
        .size:           4
        .value_kind:     by_value
      - .offset:         16
        .size:           8
        .value_kind:     by_value
      - .offset:         24
        .size:           8
        .value_kind:     by_value
      - .offset:         32
        .size:           8
        .value_kind:     by_value
      - .actual_access:  read_only
        .address_space:  global
        .offset:         40
        .size:           8
        .value_kind:     global_buffer
      - .actual_access:  read_only
        .address_space:  global
        .offset:         48
        .size:           8
        .value_kind:     global_buffer
      - .actual_access:  read_only
        .address_space:  global
        .offset:         56
        .size:           8
        .value_kind:     global_buffer
      - .actual_access:  read_only
        .address_space:  global
        .offset:         64
        .size:           8
        .value_kind:     global_buffer
      - .offset:         72
        .size:           8
        .value_kind:     by_value
      - .offset:         80
        .size:           8
        .value_kind:     by_value
      - .offset:         88
        .size:           8
        .value_kind:     by_value
      - .address_space:  global
        .offset:         96
        .size:           8
        .value_kind:     global_buffer
      - .offset:         104
        .size:           8
        .value_kind:     by_value
      - .offset:         112
        .size:           8
        .value_kind:     by_value
      - .offset:         120
        .size:           4
        .value_kind:     by_value
      - .offset:         124
        .size:           4
        .value_kind:     by_value
      - .offset:         128
        .size:           1
        .value_kind:     by_value
      - .offset:         136
        .size:           4
        .value_kind:     hidden_block_count_x
      - .offset:         140
        .size:           4
        .value_kind:     hidden_block_count_y
      - .offset:         144
        .size:           4
        .value_kind:     hidden_block_count_z
      - .offset:         148
        .size:           2
        .value_kind:     hidden_group_size_x
      - .offset:         150
        .size:           2
        .value_kind:     hidden_group_size_y
      - .offset:         152
        .size:           2
        .value_kind:     hidden_group_size_z
      - .offset:         154
        .size:           2
        .value_kind:     hidden_remainder_x
      - .offset:         156
        .size:           2
        .value_kind:     hidden_remainder_y
      - .offset:         158
        .size:           2
        .value_kind:     hidden_remainder_z
      - .offset:         176
        .size:           8
        .value_kind:     hidden_global_offset_x
      - .offset:         184
        .size:           8
        .value_kind:     hidden_global_offset_y
      - .offset:         192
        .size:           8
        .value_kind:     hidden_global_offset_z
      - .offset:         200
        .size:           2
        .value_kind:     hidden_grid_dims
    .group_segment_fixed_size: 1792
    .kernarg_segment_align: 8
    .kernarg_segment_size: 392
    .language:       OpenCL C
    .language_version:
      - 2
      - 0
    .max_flat_workgroup_size: 64
    .name:           _ZN9rocsparseL29bsrmmnn_small_blockdim_kernelILj64ELj8ELj2Eli21rocsparse_complex_numIfES2_S2_S2_EEv20rocsparse_direction_T3_S4_llNS_24const_host_device_scalarIT7_EEPKT2_PKS4_PKT4_PKT5_llS7_PT6_ll16rocsparse_order_21rocsparse_index_base_b
    .private_segment_fixed_size: 0
    .sgpr_count:     32
    .sgpr_spill_count: 0
    .symbol:         _ZN9rocsparseL29bsrmmnn_small_blockdim_kernelILj64ELj8ELj2Eli21rocsparse_complex_numIfES2_S2_S2_EEv20rocsparse_direction_T3_S4_llNS_24const_host_device_scalarIT7_EEPKT2_PKS4_PKT4_PKT5_llS7_PT6_ll16rocsparse_order_21rocsparse_index_base_b.kd
    .uniform_work_group_size: 1
    .uses_dynamic_stack: false
    .vgpr_count:     63
    .vgpr_spill_count: 0
    .wavefront_size: 64
  - .args:
      - .offset:         0
        .size:           4
        .value_kind:     by_value
      - .offset:         8
        .size:           8
        .value_kind:     by_value
      - .offset:         16
        .size:           8
        .value_kind:     by_value
      - .offset:         24
        .size:           8
        .value_kind:     by_value
      - .offset:         32
        .size:           8
        .value_kind:     by_value
      - .offset:         40
        .size:           8
        .value_kind:     by_value
      - .actual_access:  read_only
        .address_space:  global
        .offset:         48
        .size:           8
        .value_kind:     global_buffer
      - .actual_access:  read_only
        .address_space:  global
        .offset:         56
        .size:           8
        .value_kind:     global_buffer
      - .actual_access:  read_only
        .address_space:  global
        .offset:         64
        .size:           8
        .value_kind:     global_buffer
      - .actual_access:  read_only
        .address_space:  global
        .offset:         72
        .size:           8
        .value_kind:     global_buffer
      - .offset:         80
        .size:           8
        .value_kind:     by_value
      - .offset:         88
        .size:           8
        .value_kind:     by_value
      - .offset:         96
        .size:           8
        .value_kind:     by_value
      - .address_space:  global
        .offset:         104
        .size:           8
        .value_kind:     global_buffer
      - .offset:         112
        .size:           8
        .value_kind:     by_value
      - .offset:         120
        .size:           8
        .value_kind:     by_value
      - .offset:         128
        .size:           4
        .value_kind:     by_value
      - .offset:         132
        .size:           4
        .value_kind:     by_value
      - .offset:         136
        .size:           1
        .value_kind:     by_value
      - .offset:         144
        .size:           4
        .value_kind:     hidden_block_count_x
      - .offset:         148
        .size:           4
        .value_kind:     hidden_block_count_y
      - .offset:         152
        .size:           4
        .value_kind:     hidden_block_count_z
      - .offset:         156
        .size:           2
        .value_kind:     hidden_group_size_x
      - .offset:         158
        .size:           2
        .value_kind:     hidden_group_size_y
      - .offset:         160
        .size:           2
        .value_kind:     hidden_group_size_z
      - .offset:         162
        .size:           2
        .value_kind:     hidden_remainder_x
      - .offset:         164
        .size:           2
        .value_kind:     hidden_remainder_y
      - .offset:         166
        .size:           2
        .value_kind:     hidden_remainder_z
      - .offset:         184
        .size:           8
        .value_kind:     hidden_global_offset_x
      - .offset:         192
        .size:           8
        .value_kind:     hidden_global_offset_y
      - .offset:         200
        .size:           8
        .value_kind:     hidden_global_offset_z
      - .offset:         208
        .size:           2
        .value_kind:     hidden_grid_dims
    .group_segment_fixed_size: 2048
    .kernarg_segment_align: 8
    .kernarg_segment_size: 400
    .language:       OpenCL C
    .language_version:
      - 2
      - 0
    .max_flat_workgroup_size: 64
    .name:           _ZN9rocsparseL29bsrmmnn_small_blockdim_kernelILj64ELj8ELj2Ell21rocsparse_complex_numIfES2_S2_S2_EEv20rocsparse_direction_T3_S4_llNS_24const_host_device_scalarIT7_EEPKT2_PKS4_PKT4_PKT5_llS7_PT6_ll16rocsparse_order_21rocsparse_index_base_b
    .private_segment_fixed_size: 0
    .sgpr_count:     32
    .sgpr_spill_count: 0
    .symbol:         _ZN9rocsparseL29bsrmmnn_small_blockdim_kernelILj64ELj8ELj2Ell21rocsparse_complex_numIfES2_S2_S2_EEv20rocsparse_direction_T3_S4_llNS_24const_host_device_scalarIT7_EEPKT2_PKS4_PKT4_PKT5_llS7_PT6_ll16rocsparse_order_21rocsparse_index_base_b.kd
    .uniform_work_group_size: 1
    .uses_dynamic_stack: false
    .vgpr_count:     65
    .vgpr_spill_count: 0
    .wavefront_size: 64
  - .args:
      - .offset:         0
        .size:           4
        .value_kind:     by_value
      - .offset:         4
        .size:           4
        .value_kind:     by_value
      - .offset:         8
        .size:           4
        .value_kind:     by_value
      - .offset:         16
        .size:           8
        .value_kind:     by_value
      - .offset:         24
        .size:           8
        .value_kind:     by_value
      - .offset:         32
        .size:           16
        .value_kind:     by_value
      - .actual_access:  read_only
        .address_space:  global
        .offset:         48
        .size:           8
        .value_kind:     global_buffer
      - .actual_access:  read_only
        .address_space:  global
        .offset:         56
        .size:           8
        .value_kind:     global_buffer
      - .actual_access:  read_only
        .address_space:  global
        .offset:         64
        .size:           8
        .value_kind:     global_buffer
      - .actual_access:  read_only
        .address_space:  global
        .offset:         72
        .size:           8
        .value_kind:     global_buffer
      - .offset:         80
        .size:           8
        .value_kind:     by_value
      - .offset:         88
        .size:           8
        .value_kind:     by_value
      - .offset:         96
        .size:           16
        .value_kind:     by_value
      - .address_space:  global
        .offset:         112
        .size:           8
        .value_kind:     global_buffer
      - .offset:         120
        .size:           8
        .value_kind:     by_value
      - .offset:         128
        .size:           8
        .value_kind:     by_value
      - .offset:         136
        .size:           4
        .value_kind:     by_value
      - .offset:         140
        .size:           4
        .value_kind:     by_value
      - .offset:         144
        .size:           1
        .value_kind:     by_value
      - .offset:         152
        .size:           4
        .value_kind:     hidden_block_count_x
      - .offset:         156
        .size:           4
        .value_kind:     hidden_block_count_y
      - .offset:         160
        .size:           4
        .value_kind:     hidden_block_count_z
      - .offset:         164
        .size:           2
        .value_kind:     hidden_group_size_x
      - .offset:         166
        .size:           2
        .value_kind:     hidden_group_size_y
      - .offset:         168
        .size:           2
        .value_kind:     hidden_group_size_z
      - .offset:         170
        .size:           2
        .value_kind:     hidden_remainder_x
      - .offset:         172
        .size:           2
        .value_kind:     hidden_remainder_y
      - .offset:         174
        .size:           2
        .value_kind:     hidden_remainder_z
      - .offset:         192
        .size:           8
        .value_kind:     hidden_global_offset_x
      - .offset:         200
        .size:           8
        .value_kind:     hidden_global_offset_y
      - .offset:         208
        .size:           8
        .value_kind:     hidden_global_offset_z
      - .offset:         216
        .size:           2
        .value_kind:     hidden_grid_dims
    .group_segment_fixed_size: 3328
    .kernarg_segment_align: 8
    .kernarg_segment_size: 408
    .language:       OpenCL C
    .language_version:
      - 2
      - 0
    .max_flat_workgroup_size: 64
    .name:           _ZN9rocsparseL29bsrmmnn_small_blockdim_kernelILj64ELj8ELj2Eii21rocsparse_complex_numIdES2_S2_S2_EEv20rocsparse_direction_T3_S4_llNS_24const_host_device_scalarIT7_EEPKT2_PKS4_PKT4_PKT5_llS7_PT6_ll16rocsparse_order_21rocsparse_index_base_b
    .private_segment_fixed_size: 0
    .sgpr_count:     32
    .sgpr_spill_count: 0
    .symbol:         _ZN9rocsparseL29bsrmmnn_small_blockdim_kernelILj64ELj8ELj2Eii21rocsparse_complex_numIdES2_S2_S2_EEv20rocsparse_direction_T3_S4_llNS_24const_host_device_scalarIT7_EEPKT2_PKS4_PKT4_PKT5_llS7_PT6_ll16rocsparse_order_21rocsparse_index_base_b.kd
    .uniform_work_group_size: 1
    .uses_dynamic_stack: false
    .vgpr_count:     65
    .vgpr_spill_count: 0
    .wavefront_size: 64
  - .args:
      - .offset:         0
        .size:           4
        .value_kind:     by_value
      - .offset:         4
        .size:           4
        .value_kind:     by_value
      - .offset:         8
        .size:           4
        .value_kind:     by_value
      - .offset:         16
        .size:           8
        .value_kind:     by_value
      - .offset:         24
        .size:           8
        .value_kind:     by_value
      - .offset:         32
        .size:           16
        .value_kind:     by_value
      - .actual_access:  read_only
        .address_space:  global
        .offset:         48
        .size:           8
        .value_kind:     global_buffer
      - .actual_access:  read_only
        .address_space:  global
        .offset:         56
        .size:           8
        .value_kind:     global_buffer
      - .actual_access:  read_only
        .address_space:  global
        .offset:         64
        .size:           8
        .value_kind:     global_buffer
      - .actual_access:  read_only
        .address_space:  global
        .offset:         72
        .size:           8
        .value_kind:     global_buffer
      - .offset:         80
        .size:           8
        .value_kind:     by_value
      - .offset:         88
        .size:           8
        .value_kind:     by_value
      - .offset:         96
        .size:           16
        .value_kind:     by_value
      - .address_space:  global
        .offset:         112
        .size:           8
        .value_kind:     global_buffer
      - .offset:         120
        .size:           8
        .value_kind:     by_value
      - .offset:         128
        .size:           8
        .value_kind:     by_value
      - .offset:         136
        .size:           4
        .value_kind:     by_value
      - .offset:         140
        .size:           4
        .value_kind:     by_value
      - .offset:         144
        .size:           1
        .value_kind:     by_value
      - .offset:         152
        .size:           4
        .value_kind:     hidden_block_count_x
      - .offset:         156
        .size:           4
        .value_kind:     hidden_block_count_y
      - .offset:         160
        .size:           4
        .value_kind:     hidden_block_count_z
      - .offset:         164
        .size:           2
        .value_kind:     hidden_group_size_x
      - .offset:         166
        .size:           2
        .value_kind:     hidden_group_size_y
      - .offset:         168
        .size:           2
        .value_kind:     hidden_group_size_z
      - .offset:         170
        .size:           2
        .value_kind:     hidden_remainder_x
      - .offset:         172
        .size:           2
        .value_kind:     hidden_remainder_y
      - .offset:         174
        .size:           2
        .value_kind:     hidden_remainder_z
      - .offset:         192
        .size:           8
        .value_kind:     hidden_global_offset_x
      - .offset:         200
        .size:           8
        .value_kind:     hidden_global_offset_y
      - .offset:         208
        .size:           8
        .value_kind:     hidden_global_offset_z
      - .offset:         216
        .size:           2
        .value_kind:     hidden_grid_dims
    .group_segment_fixed_size: 3328
    .kernarg_segment_align: 8
    .kernarg_segment_size: 408
    .language:       OpenCL C
    .language_version:
      - 2
      - 0
    .max_flat_workgroup_size: 64
    .name:           _ZN9rocsparseL29bsrmmnn_small_blockdim_kernelILj64ELj8ELj2Eli21rocsparse_complex_numIdES2_S2_S2_EEv20rocsparse_direction_T3_S4_llNS_24const_host_device_scalarIT7_EEPKT2_PKS4_PKT4_PKT5_llS7_PT6_ll16rocsparse_order_21rocsparse_index_base_b
    .private_segment_fixed_size: 0
    .sgpr_count:     32
    .sgpr_spill_count: 0
    .symbol:         _ZN9rocsparseL29bsrmmnn_small_blockdim_kernelILj64ELj8ELj2Eli21rocsparse_complex_numIdES2_S2_S2_EEv20rocsparse_direction_T3_S4_llNS_24const_host_device_scalarIT7_EEPKT2_PKS4_PKT4_PKT5_llS7_PT6_ll16rocsparse_order_21rocsparse_index_base_b.kd
    .uniform_work_group_size: 1
    .uses_dynamic_stack: false
    .vgpr_count:     79
    .vgpr_spill_count: 0
    .wavefront_size: 64
  - .args:
      - .offset:         0
        .size:           4
        .value_kind:     by_value
      - .offset:         8
        .size:           8
        .value_kind:     by_value
      - .offset:         16
        .size:           8
        .value_kind:     by_value
      - .offset:         24
        .size:           8
        .value_kind:     by_value
      - .offset:         32
        .size:           8
        .value_kind:     by_value
      - .offset:         40
        .size:           16
        .value_kind:     by_value
      - .actual_access:  read_only
        .address_space:  global
        .offset:         56
        .size:           8
        .value_kind:     global_buffer
      - .actual_access:  read_only
        .address_space:  global
        .offset:         64
        .size:           8
        .value_kind:     global_buffer
      - .actual_access:  read_only
        .address_space:  global
        .offset:         72
        .size:           8
        .value_kind:     global_buffer
      - .actual_access:  read_only
        .address_space:  global
        .offset:         80
        .size:           8
        .value_kind:     global_buffer
      - .offset:         88
        .size:           8
        .value_kind:     by_value
      - .offset:         96
        .size:           8
        .value_kind:     by_value
      - .offset:         104
        .size:           16
        .value_kind:     by_value
      - .address_space:  global
        .offset:         120
        .size:           8
        .value_kind:     global_buffer
      - .offset:         128
        .size:           8
        .value_kind:     by_value
      - .offset:         136
        .size:           8
        .value_kind:     by_value
      - .offset:         144
        .size:           4
        .value_kind:     by_value
      - .offset:         148
        .size:           4
        .value_kind:     by_value
      - .offset:         152
        .size:           1
        .value_kind:     by_value
      - .offset:         160
        .size:           4
        .value_kind:     hidden_block_count_x
      - .offset:         164
        .size:           4
        .value_kind:     hidden_block_count_y
      - .offset:         168
        .size:           4
        .value_kind:     hidden_block_count_z
      - .offset:         172
        .size:           2
        .value_kind:     hidden_group_size_x
      - .offset:         174
        .size:           2
        .value_kind:     hidden_group_size_y
      - .offset:         176
        .size:           2
        .value_kind:     hidden_group_size_z
      - .offset:         178
        .size:           2
        .value_kind:     hidden_remainder_x
      - .offset:         180
        .size:           2
        .value_kind:     hidden_remainder_y
      - .offset:         182
        .size:           2
        .value_kind:     hidden_remainder_z
      - .offset:         200
        .size:           8
        .value_kind:     hidden_global_offset_x
      - .offset:         208
        .size:           8
        .value_kind:     hidden_global_offset_y
      - .offset:         216
        .size:           8
        .value_kind:     hidden_global_offset_z
      - .offset:         224
        .size:           2
        .value_kind:     hidden_grid_dims
    .group_segment_fixed_size: 3584
    .kernarg_segment_align: 8
    .kernarg_segment_size: 416
    .language:       OpenCL C
    .language_version:
      - 2
      - 0
    .max_flat_workgroup_size: 64
    .name:           _ZN9rocsparseL29bsrmmnn_small_blockdim_kernelILj64ELj8ELj2Ell21rocsparse_complex_numIdES2_S2_S2_EEv20rocsparse_direction_T3_S4_llNS_24const_host_device_scalarIT7_EEPKT2_PKS4_PKT4_PKT5_llS7_PT6_ll16rocsparse_order_21rocsparse_index_base_b
    .private_segment_fixed_size: 0
    .sgpr_count:     32
    .sgpr_spill_count: 0
    .symbol:         _ZN9rocsparseL29bsrmmnn_small_blockdim_kernelILj64ELj8ELj2Ell21rocsparse_complex_numIdES2_S2_S2_EEv20rocsparse_direction_T3_S4_llNS_24const_host_device_scalarIT7_EEPKT2_PKS4_PKT4_PKT5_llS7_PT6_ll16rocsparse_order_21rocsparse_index_base_b.kd
    .uniform_work_group_size: 1
    .uses_dynamic_stack: false
    .vgpr_count:     78
    .vgpr_spill_count: 0
    .wavefront_size: 64
  - .args:
      - .offset:         0
        .size:           4
        .value_kind:     by_value
      - .offset:         4
        .size:           4
        .value_kind:     by_value
      - .offset:         8
        .size:           4
        .value_kind:     by_value
      - .offset:         16
        .size:           8
        .value_kind:     by_value
      - .offset:         24
        .size:           8
        .value_kind:     by_value
      - .offset:         32
        .size:           8
        .value_kind:     by_value
      - .actual_access:  read_only
        .address_space:  global
        .offset:         40
        .size:           8
        .value_kind:     global_buffer
      - .actual_access:  read_only
        .address_space:  global
        .offset:         48
        .size:           8
        .value_kind:     global_buffer
      - .actual_access:  read_only
        .address_space:  global
        .offset:         56
        .size:           8
        .value_kind:     global_buffer
      - .actual_access:  read_only
        .address_space:  global
        .offset:         64
        .size:           8
        .value_kind:     global_buffer
      - .offset:         72
        .size:           8
        .value_kind:     by_value
      - .offset:         80
        .size:           8
        .value_kind:     by_value
      - .offset:         88
        .size:           8
        .value_kind:     by_value
      - .address_space:  global
        .offset:         96
        .size:           8
        .value_kind:     global_buffer
      - .offset:         104
        .size:           8
        .value_kind:     by_value
      - .offset:         112
        .size:           8
        .value_kind:     by_value
      - .offset:         120
        .size:           4
        .value_kind:     by_value
      - .offset:         124
        .size:           4
        .value_kind:     by_value
      - .offset:         128
        .size:           1
        .value_kind:     by_value
      - .offset:         136
        .size:           4
        .value_kind:     hidden_block_count_x
      - .offset:         140
        .size:           4
        .value_kind:     hidden_block_count_y
      - .offset:         144
        .size:           4
        .value_kind:     hidden_block_count_z
      - .offset:         148
        .size:           2
        .value_kind:     hidden_group_size_x
      - .offset:         150
        .size:           2
        .value_kind:     hidden_group_size_y
      - .offset:         152
        .size:           2
        .value_kind:     hidden_group_size_z
      - .offset:         154
        .size:           2
        .value_kind:     hidden_remainder_x
      - .offset:         156
        .size:           2
        .value_kind:     hidden_remainder_y
      - .offset:         158
        .size:           2
        .value_kind:     hidden_remainder_z
      - .offset:         176
        .size:           8
        .value_kind:     hidden_global_offset_x
      - .offset:         184
        .size:           8
        .value_kind:     hidden_global_offset_y
      - .offset:         192
        .size:           8
        .value_kind:     hidden_global_offset_z
      - .offset:         200
        .size:           2
        .value_kind:     hidden_grid_dims
    .group_segment_fixed_size: 640
    .kernarg_segment_align: 8
    .kernarg_segment_size: 392
    .language:       OpenCL C
    .language_version:
      - 2
      - 0
    .max_flat_workgroup_size: 64
    .name:           _ZN9rocsparseL29bsrmmnn_small_blockdim_kernelILj64ELj8ELj2EiiDF16_DF16_ffEEv20rocsparse_direction_T3_S2_llNS_24const_host_device_scalarIT7_EEPKT2_PKS2_PKT4_PKT5_llS5_PT6_ll16rocsparse_order_21rocsparse_index_base_b
    .private_segment_fixed_size: 0
    .sgpr_count:     36
    .sgpr_spill_count: 0
    .symbol:         _ZN9rocsparseL29bsrmmnn_small_blockdim_kernelILj64ELj8ELj2EiiDF16_DF16_ffEEv20rocsparse_direction_T3_S2_llNS_24const_host_device_scalarIT7_EEPKT2_PKS2_PKT4_PKT5_llS5_PT6_ll16rocsparse_order_21rocsparse_index_base_b.kd
    .uniform_work_group_size: 1
    .uses_dynamic_stack: false
    .vgpr_count:     40
    .vgpr_spill_count: 0
    .wavefront_size: 64
  - .args:
      - .offset:         0
        .size:           4
        .value_kind:     by_value
      - .offset:         4
        .size:           4
        .value_kind:     by_value
      - .offset:         8
        .size:           4
        .value_kind:     by_value
      - .offset:         16
        .size:           8
        .value_kind:     by_value
      - .offset:         24
        .size:           8
        .value_kind:     by_value
      - .offset:         32
        .size:           8
        .value_kind:     by_value
      - .actual_access:  read_only
        .address_space:  global
        .offset:         40
        .size:           8
        .value_kind:     global_buffer
      - .actual_access:  read_only
        .address_space:  global
        .offset:         48
        .size:           8
        .value_kind:     global_buffer
      - .actual_access:  read_only
        .address_space:  global
        .offset:         56
        .size:           8
        .value_kind:     global_buffer
      - .actual_access:  read_only
        .address_space:  global
        .offset:         64
        .size:           8
        .value_kind:     global_buffer
      - .offset:         72
        .size:           8
        .value_kind:     by_value
      - .offset:         80
        .size:           8
        .value_kind:     by_value
      - .offset:         88
        .size:           8
        .value_kind:     by_value
      - .address_space:  global
        .offset:         96
        .size:           8
        .value_kind:     global_buffer
      - .offset:         104
        .size:           8
        .value_kind:     by_value
      - .offset:         112
        .size:           8
        .value_kind:     by_value
      - .offset:         120
        .size:           4
        .value_kind:     by_value
      - .offset:         124
        .size:           4
        .value_kind:     by_value
      - .offset:         128
        .size:           1
        .value_kind:     by_value
      - .offset:         136
        .size:           4
        .value_kind:     hidden_block_count_x
      - .offset:         140
        .size:           4
        .value_kind:     hidden_block_count_y
      - .offset:         144
        .size:           4
        .value_kind:     hidden_block_count_z
      - .offset:         148
        .size:           2
        .value_kind:     hidden_group_size_x
      - .offset:         150
        .size:           2
        .value_kind:     hidden_group_size_y
      - .offset:         152
        .size:           2
        .value_kind:     hidden_group_size_z
      - .offset:         154
        .size:           2
        .value_kind:     hidden_remainder_x
      - .offset:         156
        .size:           2
        .value_kind:     hidden_remainder_y
      - .offset:         158
        .size:           2
        .value_kind:     hidden_remainder_z
      - .offset:         176
        .size:           8
        .value_kind:     hidden_global_offset_x
      - .offset:         184
        .size:           8
        .value_kind:     hidden_global_offset_y
      - .offset:         192
        .size:           8
        .value_kind:     hidden_global_offset_z
      - .offset:         200
        .size:           2
        .value_kind:     hidden_grid_dims
    .group_segment_fixed_size: 640
    .kernarg_segment_align: 8
    .kernarg_segment_size: 392
    .language:       OpenCL C
    .language_version:
      - 2
      - 0
    .max_flat_workgroup_size: 64
    .name:           _ZN9rocsparseL29bsrmmnn_small_blockdim_kernelILj64ELj8ELj2EliDF16_DF16_ffEEv20rocsparse_direction_T3_S2_llNS_24const_host_device_scalarIT7_EEPKT2_PKS2_PKT4_PKT5_llS5_PT6_ll16rocsparse_order_21rocsparse_index_base_b
    .private_segment_fixed_size: 0
    .sgpr_count:     36
    .sgpr_spill_count: 0
    .symbol:         _ZN9rocsparseL29bsrmmnn_small_blockdim_kernelILj64ELj8ELj2EliDF16_DF16_ffEEv20rocsparse_direction_T3_S2_llNS_24const_host_device_scalarIT7_EEPKT2_PKS2_PKT4_PKT5_llS5_PT6_ll16rocsparse_order_21rocsparse_index_base_b.kd
    .uniform_work_group_size: 1
    .uses_dynamic_stack: false
    .vgpr_count:     47
    .vgpr_spill_count: 0
    .wavefront_size: 64
  - .args:
      - .offset:         0
        .size:           4
        .value_kind:     by_value
      - .offset:         8
        .size:           8
        .value_kind:     by_value
      - .offset:         16
        .size:           8
        .value_kind:     by_value
      - .offset:         24
        .size:           8
        .value_kind:     by_value
      - .offset:         32
        .size:           8
        .value_kind:     by_value
      - .offset:         40
        .size:           8
        .value_kind:     by_value
      - .actual_access:  read_only
        .address_space:  global
        .offset:         48
        .size:           8
        .value_kind:     global_buffer
      - .actual_access:  read_only
        .address_space:  global
        .offset:         56
        .size:           8
        .value_kind:     global_buffer
      - .actual_access:  read_only
        .address_space:  global
        .offset:         64
        .size:           8
        .value_kind:     global_buffer
      - .actual_access:  read_only
        .address_space:  global
        .offset:         72
        .size:           8
        .value_kind:     global_buffer
      - .offset:         80
        .size:           8
        .value_kind:     by_value
      - .offset:         88
        .size:           8
        .value_kind:     by_value
      - .offset:         96
        .size:           8
        .value_kind:     by_value
      - .address_space:  global
        .offset:         104
        .size:           8
        .value_kind:     global_buffer
      - .offset:         112
        .size:           8
        .value_kind:     by_value
      - .offset:         120
        .size:           8
        .value_kind:     by_value
      - .offset:         128
        .size:           4
        .value_kind:     by_value
      - .offset:         132
        .size:           4
        .value_kind:     by_value
      - .offset:         136
        .size:           1
        .value_kind:     by_value
      - .offset:         144
        .size:           4
        .value_kind:     hidden_block_count_x
      - .offset:         148
        .size:           4
        .value_kind:     hidden_block_count_y
      - .offset:         152
        .size:           4
        .value_kind:     hidden_block_count_z
      - .offset:         156
        .size:           2
        .value_kind:     hidden_group_size_x
      - .offset:         158
        .size:           2
        .value_kind:     hidden_group_size_y
      - .offset:         160
        .size:           2
        .value_kind:     hidden_group_size_z
      - .offset:         162
        .size:           2
        .value_kind:     hidden_remainder_x
      - .offset:         164
        .size:           2
        .value_kind:     hidden_remainder_y
      - .offset:         166
        .size:           2
        .value_kind:     hidden_remainder_z
      - .offset:         184
        .size:           8
        .value_kind:     hidden_global_offset_x
      - .offset:         192
        .size:           8
        .value_kind:     hidden_global_offset_y
      - .offset:         200
        .size:           8
        .value_kind:     hidden_global_offset_z
      - .offset:         208
        .size:           2
        .value_kind:     hidden_grid_dims
    .group_segment_fixed_size: 896
    .kernarg_segment_align: 8
    .kernarg_segment_size: 400
    .language:       OpenCL C
    .language_version:
      - 2
      - 0
    .max_flat_workgroup_size: 64
    .name:           _ZN9rocsparseL29bsrmmnn_small_blockdim_kernelILj64ELj8ELj2EllDF16_DF16_ffEEv20rocsparse_direction_T3_S2_llNS_24const_host_device_scalarIT7_EEPKT2_PKS2_PKT4_PKT5_llS5_PT6_ll16rocsparse_order_21rocsparse_index_base_b
    .private_segment_fixed_size: 0
    .sgpr_count:     34
    .sgpr_spill_count: 0
    .symbol:         _ZN9rocsparseL29bsrmmnn_small_blockdim_kernelILj64ELj8ELj2EllDF16_DF16_ffEEv20rocsparse_direction_T3_S2_llNS_24const_host_device_scalarIT7_EEPKT2_PKS2_PKT4_PKT5_llS5_PT6_ll16rocsparse_order_21rocsparse_index_base_b.kd
    .uniform_work_group_size: 1
    .uses_dynamic_stack: false
    .vgpr_count:     49
    .vgpr_spill_count: 0
    .wavefront_size: 64
  - .args:
      - .offset:         0
        .size:           4
        .value_kind:     by_value
      - .offset:         4
        .size:           4
        .value_kind:     by_value
      - .offset:         8
        .size:           4
        .value_kind:     by_value
      - .offset:         16
        .size:           8
        .value_kind:     by_value
      - .offset:         24
        .size:           8
        .value_kind:     by_value
      - .offset:         32
        .size:           8
        .value_kind:     by_value
      - .actual_access:  read_only
        .address_space:  global
        .offset:         40
        .size:           8
        .value_kind:     global_buffer
      - .actual_access:  read_only
        .address_space:  global
        .offset:         48
        .size:           8
        .value_kind:     global_buffer
      - .actual_access:  read_only
        .address_space:  global
        .offset:         56
        .size:           8
        .value_kind:     global_buffer
      - .actual_access:  read_only
        .address_space:  global
        .offset:         64
        .size:           8
        .value_kind:     global_buffer
      - .offset:         72
        .size:           8
        .value_kind:     by_value
      - .offset:         80
        .size:           8
        .value_kind:     by_value
      - .offset:         88
        .size:           8
        .value_kind:     by_value
      - .address_space:  global
        .offset:         96
        .size:           8
        .value_kind:     global_buffer
      - .offset:         104
        .size:           8
        .value_kind:     by_value
      - .offset:         112
        .size:           8
        .value_kind:     by_value
      - .offset:         120
        .size:           4
        .value_kind:     by_value
      - .offset:         124
        .size:           4
        .value_kind:     by_value
      - .offset:         128
        .size:           1
        .value_kind:     by_value
      - .offset:         136
        .size:           4
        .value_kind:     hidden_block_count_x
      - .offset:         140
        .size:           4
        .value_kind:     hidden_block_count_y
      - .offset:         144
        .size:           4
        .value_kind:     hidden_block_count_z
      - .offset:         148
        .size:           2
        .value_kind:     hidden_group_size_x
      - .offset:         150
        .size:           2
        .value_kind:     hidden_group_size_y
      - .offset:         152
        .size:           2
        .value_kind:     hidden_group_size_z
      - .offset:         154
        .size:           2
        .value_kind:     hidden_remainder_x
      - .offset:         156
        .size:           2
        .value_kind:     hidden_remainder_y
      - .offset:         158
        .size:           2
        .value_kind:     hidden_remainder_z
      - .offset:         176
        .size:           8
        .value_kind:     hidden_global_offset_x
      - .offset:         184
        .size:           8
        .value_kind:     hidden_global_offset_y
      - .offset:         192
        .size:           8
        .value_kind:     hidden_global_offset_z
      - .offset:         200
        .size:           2
        .value_kind:     hidden_grid_dims
    .group_segment_fixed_size: 448
    .kernarg_segment_align: 8
    .kernarg_segment_size: 392
    .language:       OpenCL C
    .language_version:
      - 2
      - 0
    .max_flat_workgroup_size: 64
    .name:           _ZN9rocsparseL29bsrmmnn_small_blockdim_kernelILj64ELj8ELj2EiiaaiiEEv20rocsparse_direction_T3_S2_llNS_24const_host_device_scalarIT7_EEPKT2_PKS2_PKT4_PKT5_llS5_PT6_ll16rocsparse_order_21rocsparse_index_base_b
    .private_segment_fixed_size: 0
    .sgpr_count:     34
    .sgpr_spill_count: 0
    .symbol:         _ZN9rocsparseL29bsrmmnn_small_blockdim_kernelILj64ELj8ELj2EiiaaiiEEv20rocsparse_direction_T3_S2_llNS_24const_host_device_scalarIT7_EEPKT2_PKS2_PKT4_PKT5_llS5_PT6_ll16rocsparse_order_21rocsparse_index_base_b.kd
    .uniform_work_group_size: 1
    .uses_dynamic_stack: false
    .vgpr_count:     40
    .vgpr_spill_count: 0
    .wavefront_size: 64
  - .args:
      - .offset:         0
        .size:           4
        .value_kind:     by_value
      - .offset:         4
        .size:           4
        .value_kind:     by_value
      - .offset:         8
        .size:           4
        .value_kind:     by_value
      - .offset:         16
        .size:           8
        .value_kind:     by_value
      - .offset:         24
        .size:           8
        .value_kind:     by_value
      - .offset:         32
        .size:           8
        .value_kind:     by_value
      - .actual_access:  read_only
        .address_space:  global
        .offset:         40
        .size:           8
        .value_kind:     global_buffer
      - .actual_access:  read_only
        .address_space:  global
        .offset:         48
        .size:           8
        .value_kind:     global_buffer
      - .actual_access:  read_only
        .address_space:  global
        .offset:         56
        .size:           8
        .value_kind:     global_buffer
      - .actual_access:  read_only
        .address_space:  global
        .offset:         64
        .size:           8
        .value_kind:     global_buffer
      - .offset:         72
        .size:           8
        .value_kind:     by_value
      - .offset:         80
        .size:           8
        .value_kind:     by_value
      - .offset:         88
        .size:           8
        .value_kind:     by_value
      - .address_space:  global
        .offset:         96
        .size:           8
        .value_kind:     global_buffer
      - .offset:         104
        .size:           8
        .value_kind:     by_value
      - .offset:         112
        .size:           8
        .value_kind:     by_value
      - .offset:         120
        .size:           4
        .value_kind:     by_value
      - .offset:         124
        .size:           4
        .value_kind:     by_value
      - .offset:         128
        .size:           1
        .value_kind:     by_value
      - .offset:         136
        .size:           4
        .value_kind:     hidden_block_count_x
      - .offset:         140
        .size:           4
        .value_kind:     hidden_block_count_y
      - .offset:         144
        .size:           4
        .value_kind:     hidden_block_count_z
      - .offset:         148
        .size:           2
        .value_kind:     hidden_group_size_x
      - .offset:         150
        .size:           2
        .value_kind:     hidden_group_size_y
      - .offset:         152
        .size:           2
        .value_kind:     hidden_group_size_z
      - .offset:         154
        .size:           2
        .value_kind:     hidden_remainder_x
      - .offset:         156
        .size:           2
        .value_kind:     hidden_remainder_y
      - .offset:         158
        .size:           2
        .value_kind:     hidden_remainder_z
      - .offset:         176
        .size:           8
        .value_kind:     hidden_global_offset_x
      - .offset:         184
        .size:           8
        .value_kind:     hidden_global_offset_y
      - .offset:         192
        .size:           8
        .value_kind:     hidden_global_offset_z
      - .offset:         200
        .size:           2
        .value_kind:     hidden_grid_dims
    .group_segment_fixed_size: 448
    .kernarg_segment_align: 8
    .kernarg_segment_size: 392
    .language:       OpenCL C
    .language_version:
      - 2
      - 0
    .max_flat_workgroup_size: 64
    .name:           _ZN9rocsparseL29bsrmmnn_small_blockdim_kernelILj64ELj8ELj2EliaaiiEEv20rocsparse_direction_T3_S2_llNS_24const_host_device_scalarIT7_EEPKT2_PKS2_PKT4_PKT5_llS5_PT6_ll16rocsparse_order_21rocsparse_index_base_b
    .private_segment_fixed_size: 0
    .sgpr_count:     34
    .sgpr_spill_count: 0
    .symbol:         _ZN9rocsparseL29bsrmmnn_small_blockdim_kernelILj64ELj8ELj2EliaaiiEEv20rocsparse_direction_T3_S2_llNS_24const_host_device_scalarIT7_EEPKT2_PKS2_PKT4_PKT5_llS5_PT6_ll16rocsparse_order_21rocsparse_index_base_b.kd
    .uniform_work_group_size: 1
    .uses_dynamic_stack: false
    .vgpr_count:     48
    .vgpr_spill_count: 0
    .wavefront_size: 64
  - .args:
      - .offset:         0
        .size:           4
        .value_kind:     by_value
      - .offset:         8
        .size:           8
        .value_kind:     by_value
      - .offset:         16
        .size:           8
        .value_kind:     by_value
      - .offset:         24
        .size:           8
        .value_kind:     by_value
      - .offset:         32
        .size:           8
        .value_kind:     by_value
      - .offset:         40
        .size:           8
        .value_kind:     by_value
      - .actual_access:  read_only
        .address_space:  global
        .offset:         48
        .size:           8
        .value_kind:     global_buffer
      - .actual_access:  read_only
        .address_space:  global
        .offset:         56
        .size:           8
        .value_kind:     global_buffer
      - .actual_access:  read_only
        .address_space:  global
        .offset:         64
        .size:           8
        .value_kind:     global_buffer
      - .actual_access:  read_only
        .address_space:  global
        .offset:         72
        .size:           8
        .value_kind:     global_buffer
      - .offset:         80
        .size:           8
        .value_kind:     by_value
      - .offset:         88
        .size:           8
        .value_kind:     by_value
      - .offset:         96
        .size:           8
        .value_kind:     by_value
      - .address_space:  global
        .offset:         104
        .size:           8
        .value_kind:     global_buffer
      - .offset:         112
        .size:           8
        .value_kind:     by_value
      - .offset:         120
        .size:           8
        .value_kind:     by_value
      - .offset:         128
        .size:           4
        .value_kind:     by_value
      - .offset:         132
        .size:           4
        .value_kind:     by_value
      - .offset:         136
        .size:           1
        .value_kind:     by_value
      - .offset:         144
        .size:           4
        .value_kind:     hidden_block_count_x
      - .offset:         148
        .size:           4
        .value_kind:     hidden_block_count_y
      - .offset:         152
        .size:           4
        .value_kind:     hidden_block_count_z
      - .offset:         156
        .size:           2
        .value_kind:     hidden_group_size_x
      - .offset:         158
        .size:           2
        .value_kind:     hidden_group_size_y
      - .offset:         160
        .size:           2
        .value_kind:     hidden_group_size_z
      - .offset:         162
        .size:           2
        .value_kind:     hidden_remainder_x
      - .offset:         164
        .size:           2
        .value_kind:     hidden_remainder_y
      - .offset:         166
        .size:           2
        .value_kind:     hidden_remainder_z
      - .offset:         184
        .size:           8
        .value_kind:     hidden_global_offset_x
      - .offset:         192
        .size:           8
        .value_kind:     hidden_global_offset_y
      - .offset:         200
        .size:           8
        .value_kind:     hidden_global_offset_z
      - .offset:         208
        .size:           2
        .value_kind:     hidden_grid_dims
    .group_segment_fixed_size: 704
    .kernarg_segment_align: 8
    .kernarg_segment_size: 400
    .language:       OpenCL C
    .language_version:
      - 2
      - 0
    .max_flat_workgroup_size: 64
    .name:           _ZN9rocsparseL29bsrmmnn_small_blockdim_kernelILj64ELj8ELj2EllaaiiEEv20rocsparse_direction_T3_S2_llNS_24const_host_device_scalarIT7_EEPKT2_PKS2_PKT4_PKT5_llS5_PT6_ll16rocsparse_order_21rocsparse_index_base_b
    .private_segment_fixed_size: 0
    .sgpr_count:     36
    .sgpr_spill_count: 0
    .symbol:         _ZN9rocsparseL29bsrmmnn_small_blockdim_kernelILj64ELj8ELj2EllaaiiEEv20rocsparse_direction_T3_S2_llNS_24const_host_device_scalarIT7_EEPKT2_PKS2_PKT4_PKT5_llS5_PT6_ll16rocsparse_order_21rocsparse_index_base_b.kd
    .uniform_work_group_size: 1
    .uses_dynamic_stack: false
    .vgpr_count:     51
    .vgpr_spill_count: 0
    .wavefront_size: 64
  - .args:
      - .offset:         0
        .size:           4
        .value_kind:     by_value
      - .offset:         4
        .size:           4
        .value_kind:     by_value
      - .offset:         8
        .size:           4
        .value_kind:     by_value
      - .offset:         16
        .size:           8
        .value_kind:     by_value
      - .offset:         24
        .size:           8
        .value_kind:     by_value
      - .offset:         32
        .size:           8
        .value_kind:     by_value
      - .actual_access:  read_only
        .address_space:  global
        .offset:         40
        .size:           8
        .value_kind:     global_buffer
      - .actual_access:  read_only
        .address_space:  global
        .offset:         48
        .size:           8
        .value_kind:     global_buffer
      - .actual_access:  read_only
        .address_space:  global
        .offset:         56
        .size:           8
        .value_kind:     global_buffer
      - .actual_access:  read_only
        .address_space:  global
        .offset:         64
        .size:           8
        .value_kind:     global_buffer
      - .offset:         72
        .size:           8
        .value_kind:     by_value
      - .offset:         80
        .size:           8
        .value_kind:     by_value
      - .offset:         88
        .size:           8
        .value_kind:     by_value
      - .address_space:  global
        .offset:         96
        .size:           8
        .value_kind:     global_buffer
      - .offset:         104
        .size:           8
        .value_kind:     by_value
      - .offset:         112
        .size:           8
        .value_kind:     by_value
      - .offset:         120
        .size:           4
        .value_kind:     by_value
      - .offset:         124
        .size:           4
        .value_kind:     by_value
      - .offset:         128
        .size:           1
        .value_kind:     by_value
      - .offset:         136
        .size:           4
        .value_kind:     hidden_block_count_x
      - .offset:         140
        .size:           4
        .value_kind:     hidden_block_count_y
      - .offset:         144
        .size:           4
        .value_kind:     hidden_block_count_z
      - .offset:         148
        .size:           2
        .value_kind:     hidden_group_size_x
      - .offset:         150
        .size:           2
        .value_kind:     hidden_group_size_y
      - .offset:         152
        .size:           2
        .value_kind:     hidden_group_size_z
      - .offset:         154
        .size:           2
        .value_kind:     hidden_remainder_x
      - .offset:         156
        .size:           2
        .value_kind:     hidden_remainder_y
      - .offset:         158
        .size:           2
        .value_kind:     hidden_remainder_z
      - .offset:         176
        .size:           8
        .value_kind:     hidden_global_offset_x
      - .offset:         184
        .size:           8
        .value_kind:     hidden_global_offset_y
      - .offset:         192
        .size:           8
        .value_kind:     hidden_global_offset_z
      - .offset:         200
        .size:           2
        .value_kind:     hidden_grid_dims
    .group_segment_fixed_size: 448
    .kernarg_segment_align: 8
    .kernarg_segment_size: 392
    .language:       OpenCL C
    .language_version:
      - 2
      - 0
    .max_flat_workgroup_size: 64
    .name:           _ZN9rocsparseL29bsrmmnn_small_blockdim_kernelILj64ELj8ELj2EiiaaffEEv20rocsparse_direction_T3_S2_llNS_24const_host_device_scalarIT7_EEPKT2_PKS2_PKT4_PKT5_llS5_PT6_ll16rocsparse_order_21rocsparse_index_base_b
    .private_segment_fixed_size: 0
    .sgpr_count:     36
    .sgpr_spill_count: 0
    .symbol:         _ZN9rocsparseL29bsrmmnn_small_blockdim_kernelILj64ELj8ELj2EiiaaffEEv20rocsparse_direction_T3_S2_llNS_24const_host_device_scalarIT7_EEPKT2_PKS2_PKT4_PKT5_llS5_PT6_ll16rocsparse_order_21rocsparse_index_base_b.kd
    .uniform_work_group_size: 1
    .uses_dynamic_stack: false
    .vgpr_count:     46
    .vgpr_spill_count: 0
    .wavefront_size: 64
  - .args:
      - .offset:         0
        .size:           4
        .value_kind:     by_value
      - .offset:         4
        .size:           4
        .value_kind:     by_value
      - .offset:         8
        .size:           4
        .value_kind:     by_value
      - .offset:         16
        .size:           8
        .value_kind:     by_value
      - .offset:         24
        .size:           8
        .value_kind:     by_value
      - .offset:         32
        .size:           8
        .value_kind:     by_value
      - .actual_access:  read_only
        .address_space:  global
        .offset:         40
        .size:           8
        .value_kind:     global_buffer
      - .actual_access:  read_only
        .address_space:  global
        .offset:         48
        .size:           8
        .value_kind:     global_buffer
      - .actual_access:  read_only
        .address_space:  global
        .offset:         56
        .size:           8
        .value_kind:     global_buffer
      - .actual_access:  read_only
        .address_space:  global
        .offset:         64
        .size:           8
        .value_kind:     global_buffer
      - .offset:         72
        .size:           8
        .value_kind:     by_value
      - .offset:         80
        .size:           8
        .value_kind:     by_value
      - .offset:         88
        .size:           8
        .value_kind:     by_value
      - .address_space:  global
        .offset:         96
        .size:           8
        .value_kind:     global_buffer
      - .offset:         104
        .size:           8
        .value_kind:     by_value
      - .offset:         112
        .size:           8
        .value_kind:     by_value
      - .offset:         120
        .size:           4
        .value_kind:     by_value
      - .offset:         124
        .size:           4
        .value_kind:     by_value
      - .offset:         128
        .size:           1
        .value_kind:     by_value
      - .offset:         136
        .size:           4
        .value_kind:     hidden_block_count_x
      - .offset:         140
        .size:           4
        .value_kind:     hidden_block_count_y
      - .offset:         144
        .size:           4
        .value_kind:     hidden_block_count_z
      - .offset:         148
        .size:           2
        .value_kind:     hidden_group_size_x
      - .offset:         150
        .size:           2
        .value_kind:     hidden_group_size_y
      - .offset:         152
        .size:           2
        .value_kind:     hidden_group_size_z
      - .offset:         154
        .size:           2
        .value_kind:     hidden_remainder_x
      - .offset:         156
        .size:           2
        .value_kind:     hidden_remainder_y
      - .offset:         158
        .size:           2
        .value_kind:     hidden_remainder_z
      - .offset:         176
        .size:           8
        .value_kind:     hidden_global_offset_x
      - .offset:         184
        .size:           8
        .value_kind:     hidden_global_offset_y
      - .offset:         192
        .size:           8
        .value_kind:     hidden_global_offset_z
      - .offset:         200
        .size:           2
        .value_kind:     hidden_grid_dims
    .group_segment_fixed_size: 448
    .kernarg_segment_align: 8
    .kernarg_segment_size: 392
    .language:       OpenCL C
    .language_version:
      - 2
      - 0
    .max_flat_workgroup_size: 64
    .name:           _ZN9rocsparseL29bsrmmnn_small_blockdim_kernelILj64ELj8ELj2EliaaffEEv20rocsparse_direction_T3_S2_llNS_24const_host_device_scalarIT7_EEPKT2_PKS2_PKT4_PKT5_llS5_PT6_ll16rocsparse_order_21rocsparse_index_base_b
    .private_segment_fixed_size: 0
    .sgpr_count:     36
    .sgpr_spill_count: 0
    .symbol:         _ZN9rocsparseL29bsrmmnn_small_blockdim_kernelILj64ELj8ELj2EliaaffEEv20rocsparse_direction_T3_S2_llNS_24const_host_device_scalarIT7_EEPKT2_PKS2_PKT4_PKT5_llS5_PT6_ll16rocsparse_order_21rocsparse_index_base_b.kd
    .uniform_work_group_size: 1
    .uses_dynamic_stack: false
    .vgpr_count:     54
    .vgpr_spill_count: 0
    .wavefront_size: 64
  - .args:
      - .offset:         0
        .size:           4
        .value_kind:     by_value
      - .offset:         8
        .size:           8
        .value_kind:     by_value
      - .offset:         16
        .size:           8
        .value_kind:     by_value
      - .offset:         24
        .size:           8
        .value_kind:     by_value
      - .offset:         32
        .size:           8
        .value_kind:     by_value
      - .offset:         40
        .size:           8
        .value_kind:     by_value
      - .actual_access:  read_only
        .address_space:  global
        .offset:         48
        .size:           8
        .value_kind:     global_buffer
      - .actual_access:  read_only
        .address_space:  global
        .offset:         56
        .size:           8
        .value_kind:     global_buffer
      - .actual_access:  read_only
        .address_space:  global
        .offset:         64
        .size:           8
        .value_kind:     global_buffer
      - .actual_access:  read_only
        .address_space:  global
        .offset:         72
        .size:           8
        .value_kind:     global_buffer
      - .offset:         80
        .size:           8
        .value_kind:     by_value
      - .offset:         88
        .size:           8
        .value_kind:     by_value
      - .offset:         96
        .size:           8
        .value_kind:     by_value
      - .address_space:  global
        .offset:         104
        .size:           8
        .value_kind:     global_buffer
      - .offset:         112
        .size:           8
        .value_kind:     by_value
      - .offset:         120
        .size:           8
        .value_kind:     by_value
      - .offset:         128
        .size:           4
        .value_kind:     by_value
      - .offset:         132
        .size:           4
        .value_kind:     by_value
      - .offset:         136
        .size:           1
        .value_kind:     by_value
      - .offset:         144
        .size:           4
        .value_kind:     hidden_block_count_x
      - .offset:         148
        .size:           4
        .value_kind:     hidden_block_count_y
      - .offset:         152
        .size:           4
        .value_kind:     hidden_block_count_z
      - .offset:         156
        .size:           2
        .value_kind:     hidden_group_size_x
      - .offset:         158
        .size:           2
        .value_kind:     hidden_group_size_y
      - .offset:         160
        .size:           2
        .value_kind:     hidden_group_size_z
      - .offset:         162
        .size:           2
        .value_kind:     hidden_remainder_x
      - .offset:         164
        .size:           2
        .value_kind:     hidden_remainder_y
      - .offset:         166
        .size:           2
        .value_kind:     hidden_remainder_z
      - .offset:         184
        .size:           8
        .value_kind:     hidden_global_offset_x
      - .offset:         192
        .size:           8
        .value_kind:     hidden_global_offset_y
      - .offset:         200
        .size:           8
        .value_kind:     hidden_global_offset_z
      - .offset:         208
        .size:           2
        .value_kind:     hidden_grid_dims
    .group_segment_fixed_size: 704
    .kernarg_segment_align: 8
    .kernarg_segment_size: 400
    .language:       OpenCL C
    .language_version:
      - 2
      - 0
    .max_flat_workgroup_size: 64
    .name:           _ZN9rocsparseL29bsrmmnn_small_blockdim_kernelILj64ELj8ELj2EllaaffEEv20rocsparse_direction_T3_S2_llNS_24const_host_device_scalarIT7_EEPKT2_PKS2_PKT4_PKT5_llS5_PT6_ll16rocsparse_order_21rocsparse_index_base_b
    .private_segment_fixed_size: 0
    .sgpr_count:     40
    .sgpr_spill_count: 0
    .symbol:         _ZN9rocsparseL29bsrmmnn_small_blockdim_kernelILj64ELj8ELj2EllaaffEEv20rocsparse_direction_T3_S2_llNS_24const_host_device_scalarIT7_EEPKT2_PKS2_PKT4_PKT5_llS5_PT6_ll16rocsparse_order_21rocsparse_index_base_b.kd
    .uniform_work_group_size: 1
    .uses_dynamic_stack: false
    .vgpr_count:     55
    .vgpr_spill_count: 0
    .wavefront_size: 64
  - .args:
      - .offset:         0
        .size:           4
        .value_kind:     by_value
      - .offset:         4
        .size:           4
        .value_kind:     by_value
      - .offset:         8
        .size:           4
        .value_kind:     by_value
      - .offset:         16
        .size:           8
        .value_kind:     by_value
      - .offset:         24
        .size:           8
        .value_kind:     by_value
      - .offset:         32
        .size:           8
        .value_kind:     by_value
      - .actual_access:  read_only
        .address_space:  global
        .offset:         40
        .size:           8
        .value_kind:     global_buffer
      - .actual_access:  read_only
        .address_space:  global
        .offset:         48
        .size:           8
        .value_kind:     global_buffer
      - .actual_access:  read_only
        .address_space:  global
        .offset:         56
        .size:           8
        .value_kind:     global_buffer
      - .actual_access:  read_only
        .address_space:  global
        .offset:         64
        .size:           8
        .value_kind:     global_buffer
      - .offset:         72
        .size:           8
        .value_kind:     by_value
      - .offset:         80
        .size:           8
        .value_kind:     by_value
      - .offset:         88
        .size:           8
        .value_kind:     by_value
      - .address_space:  global
        .offset:         96
        .size:           8
        .value_kind:     global_buffer
      - .offset:         104
        .size:           8
        .value_kind:     by_value
      - .offset:         112
        .size:           8
        .value_kind:     by_value
      - .offset:         120
        .size:           4
        .value_kind:     by_value
      - .offset:         124
        .size:           4
        .value_kind:     by_value
      - .offset:         128
        .size:           1
        .value_kind:     by_value
      - .offset:         136
        .size:           4
        .value_kind:     hidden_block_count_x
      - .offset:         140
        .size:           4
        .value_kind:     hidden_block_count_y
      - .offset:         144
        .size:           4
        .value_kind:     hidden_block_count_z
      - .offset:         148
        .size:           2
        .value_kind:     hidden_group_size_x
      - .offset:         150
        .size:           2
        .value_kind:     hidden_group_size_y
      - .offset:         152
        .size:           2
        .value_kind:     hidden_group_size_z
      - .offset:         154
        .size:           2
        .value_kind:     hidden_remainder_x
      - .offset:         156
        .size:           2
        .value_kind:     hidden_remainder_y
      - .offset:         158
        .size:           2
        .value_kind:     hidden_remainder_z
      - .offset:         176
        .size:           8
        .value_kind:     hidden_global_offset_x
      - .offset:         184
        .size:           8
        .value_kind:     hidden_global_offset_y
      - .offset:         192
        .size:           8
        .value_kind:     hidden_global_offset_z
      - .offset:         200
        .size:           2
        .value_kind:     hidden_grid_dims
    .group_segment_fixed_size: 1024
    .kernarg_segment_align: 8
    .kernarg_segment_size: 392
    .language:       OpenCL C
    .language_version:
      - 2
      - 0
    .max_flat_workgroup_size: 64
    .name:           _ZN9rocsparseL29bsrmmnt_small_blockdim_kernelILj64ELj8ELj2EiiffffEEv20rocsparse_direction_T3_S2_llNS_24const_host_device_scalarIT7_EEPKT2_PKS2_PKT4_PKT5_llS5_PT6_ll16rocsparse_order_21rocsparse_index_base_b
    .private_segment_fixed_size: 0
    .sgpr_count:     36
    .sgpr_spill_count: 0
    .symbol:         _ZN9rocsparseL29bsrmmnt_small_blockdim_kernelILj64ELj8ELj2EiiffffEEv20rocsparse_direction_T3_S2_llNS_24const_host_device_scalarIT7_EEPKT2_PKS2_PKT4_PKT5_llS5_PT6_ll16rocsparse_order_21rocsparse_index_base_b.kd
    .uniform_work_group_size: 1
    .uses_dynamic_stack: false
    .vgpr_count:     28
    .vgpr_spill_count: 0
    .wavefront_size: 64
  - .args:
      - .offset:         0
        .size:           4
        .value_kind:     by_value
      - .offset:         4
        .size:           4
        .value_kind:     by_value
      - .offset:         8
        .size:           4
        .value_kind:     by_value
      - .offset:         16
        .size:           8
        .value_kind:     by_value
      - .offset:         24
        .size:           8
        .value_kind:     by_value
      - .offset:         32
        .size:           8
        .value_kind:     by_value
      - .actual_access:  read_only
        .address_space:  global
        .offset:         40
        .size:           8
        .value_kind:     global_buffer
      - .actual_access:  read_only
        .address_space:  global
        .offset:         48
        .size:           8
        .value_kind:     global_buffer
      - .actual_access:  read_only
        .address_space:  global
        .offset:         56
        .size:           8
        .value_kind:     global_buffer
      - .actual_access:  read_only
        .address_space:  global
        .offset:         64
        .size:           8
        .value_kind:     global_buffer
      - .offset:         72
        .size:           8
        .value_kind:     by_value
      - .offset:         80
        .size:           8
        .value_kind:     by_value
      - .offset:         88
        .size:           8
        .value_kind:     by_value
      - .address_space:  global
        .offset:         96
        .size:           8
        .value_kind:     global_buffer
      - .offset:         104
        .size:           8
        .value_kind:     by_value
      - .offset:         112
        .size:           8
        .value_kind:     by_value
      - .offset:         120
        .size:           4
        .value_kind:     by_value
      - .offset:         124
        .size:           4
        .value_kind:     by_value
      - .offset:         128
        .size:           1
        .value_kind:     by_value
      - .offset:         136
        .size:           4
        .value_kind:     hidden_block_count_x
      - .offset:         140
        .size:           4
        .value_kind:     hidden_block_count_y
      - .offset:         144
        .size:           4
        .value_kind:     hidden_block_count_z
      - .offset:         148
        .size:           2
        .value_kind:     hidden_group_size_x
      - .offset:         150
        .size:           2
        .value_kind:     hidden_group_size_y
      - .offset:         152
        .size:           2
        .value_kind:     hidden_group_size_z
      - .offset:         154
        .size:           2
        .value_kind:     hidden_remainder_x
      - .offset:         156
        .size:           2
        .value_kind:     hidden_remainder_y
      - .offset:         158
        .size:           2
        .value_kind:     hidden_remainder_z
      - .offset:         176
        .size:           8
        .value_kind:     hidden_global_offset_x
      - .offset:         184
        .size:           8
        .value_kind:     hidden_global_offset_y
      - .offset:         192
        .size:           8
        .value_kind:     hidden_global_offset_z
      - .offset:         200
        .size:           2
        .value_kind:     hidden_grid_dims
    .group_segment_fixed_size: 1024
    .kernarg_segment_align: 8
    .kernarg_segment_size: 392
    .language:       OpenCL C
    .language_version:
      - 2
      - 0
    .max_flat_workgroup_size: 64
    .name:           _ZN9rocsparseL29bsrmmnt_small_blockdim_kernelILj64ELj16ELj2EiiffffEEv20rocsparse_direction_T3_S2_llNS_24const_host_device_scalarIT7_EEPKT2_PKS2_PKT4_PKT5_llS5_PT6_ll16rocsparse_order_21rocsparse_index_base_b
    .private_segment_fixed_size: 0
    .sgpr_count:     36
    .sgpr_spill_count: 0
    .symbol:         _ZN9rocsparseL29bsrmmnt_small_blockdim_kernelILj64ELj16ELj2EiiffffEEv20rocsparse_direction_T3_S2_llNS_24const_host_device_scalarIT7_EEPKT2_PKS2_PKT4_PKT5_llS5_PT6_ll16rocsparse_order_21rocsparse_index_base_b.kd
    .uniform_work_group_size: 1
    .uses_dynamic_stack: false
    .vgpr_count:     28
    .vgpr_spill_count: 0
    .wavefront_size: 64
  - .args:
      - .offset:         0
        .size:           4
        .value_kind:     by_value
      - .offset:         4
        .size:           4
        .value_kind:     by_value
      - .offset:         8
        .size:           4
        .value_kind:     by_value
      - .offset:         16
        .size:           8
        .value_kind:     by_value
      - .offset:         24
        .size:           8
        .value_kind:     by_value
      - .offset:         32
        .size:           8
        .value_kind:     by_value
      - .actual_access:  read_only
        .address_space:  global
        .offset:         40
        .size:           8
        .value_kind:     global_buffer
      - .actual_access:  read_only
        .address_space:  global
        .offset:         48
        .size:           8
        .value_kind:     global_buffer
      - .actual_access:  read_only
        .address_space:  global
        .offset:         56
        .size:           8
        .value_kind:     global_buffer
      - .actual_access:  read_only
        .address_space:  global
        .offset:         64
        .size:           8
        .value_kind:     global_buffer
      - .offset:         72
        .size:           8
        .value_kind:     by_value
      - .offset:         80
        .size:           8
        .value_kind:     by_value
      - .offset:         88
        .size:           8
        .value_kind:     by_value
      - .address_space:  global
        .offset:         96
        .size:           8
        .value_kind:     global_buffer
      - .offset:         104
        .size:           8
        .value_kind:     by_value
      - .offset:         112
        .size:           8
        .value_kind:     by_value
      - .offset:         120
        .size:           4
        .value_kind:     by_value
      - .offset:         124
        .size:           4
        .value_kind:     by_value
      - .offset:         128
        .size:           1
        .value_kind:     by_value
      - .offset:         136
        .size:           4
        .value_kind:     hidden_block_count_x
      - .offset:         140
        .size:           4
        .value_kind:     hidden_block_count_y
      - .offset:         144
        .size:           4
        .value_kind:     hidden_block_count_z
      - .offset:         148
        .size:           2
        .value_kind:     hidden_group_size_x
      - .offset:         150
        .size:           2
        .value_kind:     hidden_group_size_y
      - .offset:         152
        .size:           2
        .value_kind:     hidden_group_size_z
      - .offset:         154
        .size:           2
        .value_kind:     hidden_remainder_x
      - .offset:         156
        .size:           2
        .value_kind:     hidden_remainder_y
      - .offset:         158
        .size:           2
        .value_kind:     hidden_remainder_z
      - .offset:         176
        .size:           8
        .value_kind:     hidden_global_offset_x
      - .offset:         184
        .size:           8
        .value_kind:     hidden_global_offset_y
      - .offset:         192
        .size:           8
        .value_kind:     hidden_global_offset_z
      - .offset:         200
        .size:           2
        .value_kind:     hidden_grid_dims
    .group_segment_fixed_size: 1024
    .kernarg_segment_align: 8
    .kernarg_segment_size: 392
    .language:       OpenCL C
    .language_version:
      - 2
      - 0
    .max_flat_workgroup_size: 64
    .name:           _ZN9rocsparseL29bsrmmnt_small_blockdim_kernelILj64ELj32ELj2EiiffffEEv20rocsparse_direction_T3_S2_llNS_24const_host_device_scalarIT7_EEPKT2_PKS2_PKT4_PKT5_llS5_PT6_ll16rocsparse_order_21rocsparse_index_base_b
    .private_segment_fixed_size: 0
    .sgpr_count:     36
    .sgpr_spill_count: 0
    .symbol:         _ZN9rocsparseL29bsrmmnt_small_blockdim_kernelILj64ELj32ELj2EiiffffEEv20rocsparse_direction_T3_S2_llNS_24const_host_device_scalarIT7_EEPKT2_PKS2_PKT4_PKT5_llS5_PT6_ll16rocsparse_order_21rocsparse_index_base_b.kd
    .uniform_work_group_size: 1
    .uses_dynamic_stack: false
    .vgpr_count:     28
    .vgpr_spill_count: 0
    .wavefront_size: 64
  - .args:
      - .offset:         0
        .size:           4
        .value_kind:     by_value
      - .offset:         4
        .size:           4
        .value_kind:     by_value
      - .offset:         8
        .size:           4
        .value_kind:     by_value
      - .offset:         16
        .size:           8
        .value_kind:     by_value
      - .offset:         24
        .size:           8
        .value_kind:     by_value
      - .offset:         32
        .size:           8
        .value_kind:     by_value
      - .actual_access:  read_only
        .address_space:  global
        .offset:         40
        .size:           8
        .value_kind:     global_buffer
      - .actual_access:  read_only
        .address_space:  global
        .offset:         48
        .size:           8
        .value_kind:     global_buffer
      - .actual_access:  read_only
        .address_space:  global
        .offset:         56
        .size:           8
        .value_kind:     global_buffer
      - .actual_access:  read_only
        .address_space:  global
        .offset:         64
        .size:           8
        .value_kind:     global_buffer
      - .offset:         72
        .size:           8
        .value_kind:     by_value
      - .offset:         80
        .size:           8
        .value_kind:     by_value
      - .offset:         88
        .size:           8
        .value_kind:     by_value
      - .address_space:  global
        .offset:         96
        .size:           8
        .value_kind:     global_buffer
      - .offset:         104
        .size:           8
        .value_kind:     by_value
      - .offset:         112
        .size:           8
        .value_kind:     by_value
      - .offset:         120
        .size:           4
        .value_kind:     by_value
      - .offset:         124
        .size:           4
        .value_kind:     by_value
      - .offset:         128
        .size:           1
        .value_kind:     by_value
      - .offset:         136
        .size:           4
        .value_kind:     hidden_block_count_x
      - .offset:         140
        .size:           4
        .value_kind:     hidden_block_count_y
      - .offset:         144
        .size:           4
        .value_kind:     hidden_block_count_z
      - .offset:         148
        .size:           2
        .value_kind:     hidden_group_size_x
      - .offset:         150
        .size:           2
        .value_kind:     hidden_group_size_y
      - .offset:         152
        .size:           2
        .value_kind:     hidden_group_size_z
      - .offset:         154
        .size:           2
        .value_kind:     hidden_remainder_x
      - .offset:         156
        .size:           2
        .value_kind:     hidden_remainder_y
      - .offset:         158
        .size:           2
        .value_kind:     hidden_remainder_z
      - .offset:         176
        .size:           8
        .value_kind:     hidden_global_offset_x
      - .offset:         184
        .size:           8
        .value_kind:     hidden_global_offset_y
      - .offset:         192
        .size:           8
        .value_kind:     hidden_global_offset_z
      - .offset:         200
        .size:           2
        .value_kind:     hidden_grid_dims
    .group_segment_fixed_size: 1024
    .kernarg_segment_align: 8
    .kernarg_segment_size: 392
    .language:       OpenCL C
    .language_version:
      - 2
      - 0
    .max_flat_workgroup_size: 64
    .name:           _ZN9rocsparseL29bsrmmnt_small_blockdim_kernelILj64ELj64ELj2EiiffffEEv20rocsparse_direction_T3_S2_llNS_24const_host_device_scalarIT7_EEPKT2_PKS2_PKT4_PKT5_llS5_PT6_ll16rocsparse_order_21rocsparse_index_base_b
    .private_segment_fixed_size: 0
    .sgpr_count:     36
    .sgpr_spill_count: 0
    .symbol:         _ZN9rocsparseL29bsrmmnt_small_blockdim_kernelILj64ELj64ELj2EiiffffEEv20rocsparse_direction_T3_S2_llNS_24const_host_device_scalarIT7_EEPKT2_PKS2_PKT4_PKT5_llS5_PT6_ll16rocsparse_order_21rocsparse_index_base_b.kd
    .uniform_work_group_size: 1
    .uses_dynamic_stack: false
    .vgpr_count:     27
    .vgpr_spill_count: 0
    .wavefront_size: 64
  - .args:
      - .offset:         0
        .size:           4
        .value_kind:     by_value
      - .offset:         4
        .size:           4
        .value_kind:     by_value
      - .offset:         8
        .size:           4
        .value_kind:     by_value
      - .offset:         16
        .size:           8
        .value_kind:     by_value
      - .offset:         24
        .size:           8
        .value_kind:     by_value
      - .offset:         32
        .size:           8
        .value_kind:     by_value
      - .actual_access:  read_only
        .address_space:  global
        .offset:         40
        .size:           8
        .value_kind:     global_buffer
      - .actual_access:  read_only
        .address_space:  global
        .offset:         48
        .size:           8
        .value_kind:     global_buffer
      - .actual_access:  read_only
        .address_space:  global
        .offset:         56
        .size:           8
        .value_kind:     global_buffer
      - .actual_access:  read_only
        .address_space:  global
        .offset:         64
        .size:           8
        .value_kind:     global_buffer
      - .offset:         72
        .size:           8
        .value_kind:     by_value
      - .offset:         80
        .size:           8
        .value_kind:     by_value
      - .offset:         88
        .size:           8
        .value_kind:     by_value
      - .address_space:  global
        .offset:         96
        .size:           8
        .value_kind:     global_buffer
      - .offset:         104
        .size:           8
        .value_kind:     by_value
      - .offset:         112
        .size:           8
        .value_kind:     by_value
      - .offset:         120
        .size:           4
        .value_kind:     by_value
      - .offset:         124
        .size:           4
        .value_kind:     by_value
      - .offset:         128
        .size:           1
        .value_kind:     by_value
      - .offset:         136
        .size:           4
        .value_kind:     hidden_block_count_x
      - .offset:         140
        .size:           4
        .value_kind:     hidden_block_count_y
      - .offset:         144
        .size:           4
        .value_kind:     hidden_block_count_z
      - .offset:         148
        .size:           2
        .value_kind:     hidden_group_size_x
      - .offset:         150
        .size:           2
        .value_kind:     hidden_group_size_y
      - .offset:         152
        .size:           2
        .value_kind:     hidden_group_size_z
      - .offset:         154
        .size:           2
        .value_kind:     hidden_remainder_x
      - .offset:         156
        .size:           2
        .value_kind:     hidden_remainder_y
      - .offset:         158
        .size:           2
        .value_kind:     hidden_remainder_z
      - .offset:         176
        .size:           8
        .value_kind:     hidden_global_offset_x
      - .offset:         184
        .size:           8
        .value_kind:     hidden_global_offset_y
      - .offset:         192
        .size:           8
        .value_kind:     hidden_global_offset_z
      - .offset:         200
        .size:           2
        .value_kind:     hidden_grid_dims
    .group_segment_fixed_size: 1024
    .kernarg_segment_align: 8
    .kernarg_segment_size: 392
    .language:       OpenCL C
    .language_version:
      - 2
      - 0
    .max_flat_workgroup_size: 64
    .name:           _ZN9rocsparseL29bsrmmnt_small_blockdim_kernelILj64ELj8ELj2EliffffEEv20rocsparse_direction_T3_S2_llNS_24const_host_device_scalarIT7_EEPKT2_PKS2_PKT4_PKT5_llS5_PT6_ll16rocsparse_order_21rocsparse_index_base_b
    .private_segment_fixed_size: 0
    .sgpr_count:     36
    .sgpr_spill_count: 0
    .symbol:         _ZN9rocsparseL29bsrmmnt_small_blockdim_kernelILj64ELj8ELj2EliffffEEv20rocsparse_direction_T3_S2_llNS_24const_host_device_scalarIT7_EEPKT2_PKS2_PKT4_PKT5_llS5_PT6_ll16rocsparse_order_21rocsparse_index_base_b.kd
    .uniform_work_group_size: 1
    .uses_dynamic_stack: false
    .vgpr_count:     30
    .vgpr_spill_count: 0
    .wavefront_size: 64
  - .args:
      - .offset:         0
        .size:           4
        .value_kind:     by_value
      - .offset:         4
        .size:           4
        .value_kind:     by_value
      - .offset:         8
        .size:           4
        .value_kind:     by_value
      - .offset:         16
        .size:           8
        .value_kind:     by_value
      - .offset:         24
        .size:           8
        .value_kind:     by_value
      - .offset:         32
        .size:           8
        .value_kind:     by_value
      - .actual_access:  read_only
        .address_space:  global
        .offset:         40
        .size:           8
        .value_kind:     global_buffer
      - .actual_access:  read_only
        .address_space:  global
        .offset:         48
        .size:           8
        .value_kind:     global_buffer
      - .actual_access:  read_only
        .address_space:  global
        .offset:         56
        .size:           8
        .value_kind:     global_buffer
      - .actual_access:  read_only
        .address_space:  global
        .offset:         64
        .size:           8
        .value_kind:     global_buffer
      - .offset:         72
        .size:           8
        .value_kind:     by_value
      - .offset:         80
        .size:           8
        .value_kind:     by_value
      - .offset:         88
        .size:           8
        .value_kind:     by_value
      - .address_space:  global
        .offset:         96
        .size:           8
        .value_kind:     global_buffer
      - .offset:         104
        .size:           8
        .value_kind:     by_value
      - .offset:         112
        .size:           8
        .value_kind:     by_value
      - .offset:         120
        .size:           4
        .value_kind:     by_value
      - .offset:         124
        .size:           4
        .value_kind:     by_value
      - .offset:         128
        .size:           1
        .value_kind:     by_value
      - .offset:         136
        .size:           4
        .value_kind:     hidden_block_count_x
      - .offset:         140
        .size:           4
        .value_kind:     hidden_block_count_y
      - .offset:         144
        .size:           4
        .value_kind:     hidden_block_count_z
      - .offset:         148
        .size:           2
        .value_kind:     hidden_group_size_x
      - .offset:         150
        .size:           2
        .value_kind:     hidden_group_size_y
      - .offset:         152
        .size:           2
        .value_kind:     hidden_group_size_z
      - .offset:         154
        .size:           2
        .value_kind:     hidden_remainder_x
      - .offset:         156
        .size:           2
        .value_kind:     hidden_remainder_y
      - .offset:         158
        .size:           2
        .value_kind:     hidden_remainder_z
      - .offset:         176
        .size:           8
        .value_kind:     hidden_global_offset_x
      - .offset:         184
        .size:           8
        .value_kind:     hidden_global_offset_y
      - .offset:         192
        .size:           8
        .value_kind:     hidden_global_offset_z
      - .offset:         200
        .size:           2
        .value_kind:     hidden_grid_dims
    .group_segment_fixed_size: 1024
    .kernarg_segment_align: 8
    .kernarg_segment_size: 392
    .language:       OpenCL C
    .language_version:
      - 2
      - 0
    .max_flat_workgroup_size: 64
    .name:           _ZN9rocsparseL29bsrmmnt_small_blockdim_kernelILj64ELj16ELj2EliffffEEv20rocsparse_direction_T3_S2_llNS_24const_host_device_scalarIT7_EEPKT2_PKS2_PKT4_PKT5_llS5_PT6_ll16rocsparse_order_21rocsparse_index_base_b
    .private_segment_fixed_size: 0
    .sgpr_count:     36
    .sgpr_spill_count: 0
    .symbol:         _ZN9rocsparseL29bsrmmnt_small_blockdim_kernelILj64ELj16ELj2EliffffEEv20rocsparse_direction_T3_S2_llNS_24const_host_device_scalarIT7_EEPKT2_PKS2_PKT4_PKT5_llS5_PT6_ll16rocsparse_order_21rocsparse_index_base_b.kd
    .uniform_work_group_size: 1
    .uses_dynamic_stack: false
    .vgpr_count:     30
    .vgpr_spill_count: 0
    .wavefront_size: 64
  - .args:
      - .offset:         0
        .size:           4
        .value_kind:     by_value
      - .offset:         4
        .size:           4
        .value_kind:     by_value
      - .offset:         8
        .size:           4
        .value_kind:     by_value
      - .offset:         16
        .size:           8
        .value_kind:     by_value
      - .offset:         24
        .size:           8
        .value_kind:     by_value
      - .offset:         32
        .size:           8
        .value_kind:     by_value
      - .actual_access:  read_only
        .address_space:  global
        .offset:         40
        .size:           8
        .value_kind:     global_buffer
      - .actual_access:  read_only
        .address_space:  global
        .offset:         48
        .size:           8
        .value_kind:     global_buffer
      - .actual_access:  read_only
        .address_space:  global
        .offset:         56
        .size:           8
        .value_kind:     global_buffer
      - .actual_access:  read_only
        .address_space:  global
        .offset:         64
        .size:           8
        .value_kind:     global_buffer
      - .offset:         72
        .size:           8
        .value_kind:     by_value
      - .offset:         80
        .size:           8
        .value_kind:     by_value
      - .offset:         88
        .size:           8
        .value_kind:     by_value
      - .address_space:  global
        .offset:         96
        .size:           8
        .value_kind:     global_buffer
      - .offset:         104
        .size:           8
        .value_kind:     by_value
      - .offset:         112
        .size:           8
        .value_kind:     by_value
      - .offset:         120
        .size:           4
        .value_kind:     by_value
      - .offset:         124
        .size:           4
        .value_kind:     by_value
      - .offset:         128
        .size:           1
        .value_kind:     by_value
      - .offset:         136
        .size:           4
        .value_kind:     hidden_block_count_x
      - .offset:         140
        .size:           4
        .value_kind:     hidden_block_count_y
      - .offset:         144
        .size:           4
        .value_kind:     hidden_block_count_z
      - .offset:         148
        .size:           2
        .value_kind:     hidden_group_size_x
      - .offset:         150
        .size:           2
        .value_kind:     hidden_group_size_y
      - .offset:         152
        .size:           2
        .value_kind:     hidden_group_size_z
      - .offset:         154
        .size:           2
        .value_kind:     hidden_remainder_x
      - .offset:         156
        .size:           2
        .value_kind:     hidden_remainder_y
      - .offset:         158
        .size:           2
        .value_kind:     hidden_remainder_z
      - .offset:         176
        .size:           8
        .value_kind:     hidden_global_offset_x
      - .offset:         184
        .size:           8
        .value_kind:     hidden_global_offset_y
      - .offset:         192
        .size:           8
        .value_kind:     hidden_global_offset_z
      - .offset:         200
        .size:           2
        .value_kind:     hidden_grid_dims
    .group_segment_fixed_size: 1024
    .kernarg_segment_align: 8
    .kernarg_segment_size: 392
    .language:       OpenCL C
    .language_version:
      - 2
      - 0
    .max_flat_workgroup_size: 64
    .name:           _ZN9rocsparseL29bsrmmnt_small_blockdim_kernelILj64ELj32ELj2EliffffEEv20rocsparse_direction_T3_S2_llNS_24const_host_device_scalarIT7_EEPKT2_PKS2_PKT4_PKT5_llS5_PT6_ll16rocsparse_order_21rocsparse_index_base_b
    .private_segment_fixed_size: 0
    .sgpr_count:     36
    .sgpr_spill_count: 0
    .symbol:         _ZN9rocsparseL29bsrmmnt_small_blockdim_kernelILj64ELj32ELj2EliffffEEv20rocsparse_direction_T3_S2_llNS_24const_host_device_scalarIT7_EEPKT2_PKS2_PKT4_PKT5_llS5_PT6_ll16rocsparse_order_21rocsparse_index_base_b.kd
    .uniform_work_group_size: 1
    .uses_dynamic_stack: false
    .vgpr_count:     30
    .vgpr_spill_count: 0
    .wavefront_size: 64
  - .args:
      - .offset:         0
        .size:           4
        .value_kind:     by_value
      - .offset:         4
        .size:           4
        .value_kind:     by_value
      - .offset:         8
        .size:           4
        .value_kind:     by_value
      - .offset:         16
        .size:           8
        .value_kind:     by_value
      - .offset:         24
        .size:           8
        .value_kind:     by_value
      - .offset:         32
        .size:           8
        .value_kind:     by_value
      - .actual_access:  read_only
        .address_space:  global
        .offset:         40
        .size:           8
        .value_kind:     global_buffer
      - .actual_access:  read_only
        .address_space:  global
        .offset:         48
        .size:           8
        .value_kind:     global_buffer
      - .actual_access:  read_only
        .address_space:  global
        .offset:         56
        .size:           8
        .value_kind:     global_buffer
      - .actual_access:  read_only
        .address_space:  global
        .offset:         64
        .size:           8
        .value_kind:     global_buffer
      - .offset:         72
        .size:           8
        .value_kind:     by_value
      - .offset:         80
        .size:           8
        .value_kind:     by_value
      - .offset:         88
        .size:           8
        .value_kind:     by_value
      - .address_space:  global
        .offset:         96
        .size:           8
        .value_kind:     global_buffer
      - .offset:         104
        .size:           8
        .value_kind:     by_value
      - .offset:         112
        .size:           8
        .value_kind:     by_value
      - .offset:         120
        .size:           4
        .value_kind:     by_value
      - .offset:         124
        .size:           4
        .value_kind:     by_value
      - .offset:         128
        .size:           1
        .value_kind:     by_value
      - .offset:         136
        .size:           4
        .value_kind:     hidden_block_count_x
      - .offset:         140
        .size:           4
        .value_kind:     hidden_block_count_y
      - .offset:         144
        .size:           4
        .value_kind:     hidden_block_count_z
      - .offset:         148
        .size:           2
        .value_kind:     hidden_group_size_x
      - .offset:         150
        .size:           2
        .value_kind:     hidden_group_size_y
      - .offset:         152
        .size:           2
        .value_kind:     hidden_group_size_z
      - .offset:         154
        .size:           2
        .value_kind:     hidden_remainder_x
      - .offset:         156
        .size:           2
        .value_kind:     hidden_remainder_y
      - .offset:         158
        .size:           2
        .value_kind:     hidden_remainder_z
      - .offset:         176
        .size:           8
        .value_kind:     hidden_global_offset_x
      - .offset:         184
        .size:           8
        .value_kind:     hidden_global_offset_y
      - .offset:         192
        .size:           8
        .value_kind:     hidden_global_offset_z
      - .offset:         200
        .size:           2
        .value_kind:     hidden_grid_dims
    .group_segment_fixed_size: 1024
    .kernarg_segment_align: 8
    .kernarg_segment_size: 392
    .language:       OpenCL C
    .language_version:
      - 2
      - 0
    .max_flat_workgroup_size: 64
    .name:           _ZN9rocsparseL29bsrmmnt_small_blockdim_kernelILj64ELj64ELj2EliffffEEv20rocsparse_direction_T3_S2_llNS_24const_host_device_scalarIT7_EEPKT2_PKS2_PKT4_PKT5_llS5_PT6_ll16rocsparse_order_21rocsparse_index_base_b
    .private_segment_fixed_size: 0
    .sgpr_count:     36
    .sgpr_spill_count: 0
    .symbol:         _ZN9rocsparseL29bsrmmnt_small_blockdim_kernelILj64ELj64ELj2EliffffEEv20rocsparse_direction_T3_S2_llNS_24const_host_device_scalarIT7_EEPKT2_PKS2_PKT4_PKT5_llS5_PT6_ll16rocsparse_order_21rocsparse_index_base_b.kd
    .uniform_work_group_size: 1
    .uses_dynamic_stack: false
    .vgpr_count:     28
    .vgpr_spill_count: 0
    .wavefront_size: 64
  - .args:
      - .offset:         0
        .size:           4
        .value_kind:     by_value
      - .offset:         8
        .size:           8
        .value_kind:     by_value
      - .offset:         16
        .size:           8
        .value_kind:     by_value
      - .offset:         24
        .size:           8
        .value_kind:     by_value
      - .offset:         32
        .size:           8
        .value_kind:     by_value
      - .offset:         40
        .size:           8
        .value_kind:     by_value
      - .actual_access:  read_only
        .address_space:  global
        .offset:         48
        .size:           8
        .value_kind:     global_buffer
      - .actual_access:  read_only
        .address_space:  global
        .offset:         56
        .size:           8
        .value_kind:     global_buffer
      - .actual_access:  read_only
        .address_space:  global
        .offset:         64
        .size:           8
        .value_kind:     global_buffer
      - .actual_access:  read_only
        .address_space:  global
        .offset:         72
        .size:           8
        .value_kind:     global_buffer
      - .offset:         80
        .size:           8
        .value_kind:     by_value
      - .offset:         88
        .size:           8
        .value_kind:     by_value
      - .offset:         96
        .size:           8
        .value_kind:     by_value
      - .address_space:  global
        .offset:         104
        .size:           8
        .value_kind:     global_buffer
      - .offset:         112
        .size:           8
        .value_kind:     by_value
      - .offset:         120
        .size:           8
        .value_kind:     by_value
      - .offset:         128
        .size:           4
        .value_kind:     by_value
      - .offset:         132
        .size:           4
        .value_kind:     by_value
      - .offset:         136
        .size:           1
        .value_kind:     by_value
      - .offset:         144
        .size:           4
        .value_kind:     hidden_block_count_x
      - .offset:         148
        .size:           4
        .value_kind:     hidden_block_count_y
      - .offset:         152
        .size:           4
        .value_kind:     hidden_block_count_z
      - .offset:         156
        .size:           2
        .value_kind:     hidden_group_size_x
      - .offset:         158
        .size:           2
        .value_kind:     hidden_group_size_y
      - .offset:         160
        .size:           2
        .value_kind:     hidden_group_size_z
      - .offset:         162
        .size:           2
        .value_kind:     hidden_remainder_x
      - .offset:         164
        .size:           2
        .value_kind:     hidden_remainder_y
      - .offset:         166
        .size:           2
        .value_kind:     hidden_remainder_z
      - .offset:         184
        .size:           8
        .value_kind:     hidden_global_offset_x
      - .offset:         192
        .size:           8
        .value_kind:     hidden_global_offset_y
      - .offset:         200
        .size:           8
        .value_kind:     hidden_global_offset_z
      - .offset:         208
        .size:           2
        .value_kind:     hidden_grid_dims
    .group_segment_fixed_size: 1280
    .kernarg_segment_align: 8
    .kernarg_segment_size: 400
    .language:       OpenCL C
    .language_version:
      - 2
      - 0
    .max_flat_workgroup_size: 64
    .name:           _ZN9rocsparseL29bsrmmnt_small_blockdim_kernelILj64ELj8ELj2EllffffEEv20rocsparse_direction_T3_S2_llNS_24const_host_device_scalarIT7_EEPKT2_PKS2_PKT4_PKT5_llS5_PT6_ll16rocsparse_order_21rocsparse_index_base_b
    .private_segment_fixed_size: 0
    .sgpr_count:     40
    .sgpr_spill_count: 0
    .symbol:         _ZN9rocsparseL29bsrmmnt_small_blockdim_kernelILj64ELj8ELj2EllffffEEv20rocsparse_direction_T3_S2_llNS_24const_host_device_scalarIT7_EEPKT2_PKS2_PKT4_PKT5_llS5_PT6_ll16rocsparse_order_21rocsparse_index_base_b.kd
    .uniform_work_group_size: 1
    .uses_dynamic_stack: false
    .vgpr_count:     34
    .vgpr_spill_count: 0
    .wavefront_size: 64
  - .args:
      - .offset:         0
        .size:           4
        .value_kind:     by_value
      - .offset:         8
        .size:           8
        .value_kind:     by_value
      - .offset:         16
        .size:           8
        .value_kind:     by_value
      - .offset:         24
        .size:           8
        .value_kind:     by_value
      - .offset:         32
        .size:           8
        .value_kind:     by_value
      - .offset:         40
        .size:           8
        .value_kind:     by_value
      - .actual_access:  read_only
        .address_space:  global
        .offset:         48
        .size:           8
        .value_kind:     global_buffer
      - .actual_access:  read_only
        .address_space:  global
        .offset:         56
        .size:           8
        .value_kind:     global_buffer
      - .actual_access:  read_only
        .address_space:  global
        .offset:         64
        .size:           8
        .value_kind:     global_buffer
      - .actual_access:  read_only
        .address_space:  global
        .offset:         72
        .size:           8
        .value_kind:     global_buffer
      - .offset:         80
        .size:           8
        .value_kind:     by_value
      - .offset:         88
        .size:           8
        .value_kind:     by_value
      - .offset:         96
        .size:           8
        .value_kind:     by_value
      - .address_space:  global
        .offset:         104
        .size:           8
        .value_kind:     global_buffer
      - .offset:         112
        .size:           8
        .value_kind:     by_value
      - .offset:         120
        .size:           8
        .value_kind:     by_value
      - .offset:         128
        .size:           4
        .value_kind:     by_value
      - .offset:         132
        .size:           4
        .value_kind:     by_value
      - .offset:         136
        .size:           1
        .value_kind:     by_value
      - .offset:         144
        .size:           4
        .value_kind:     hidden_block_count_x
      - .offset:         148
        .size:           4
        .value_kind:     hidden_block_count_y
      - .offset:         152
        .size:           4
        .value_kind:     hidden_block_count_z
      - .offset:         156
        .size:           2
        .value_kind:     hidden_group_size_x
      - .offset:         158
        .size:           2
        .value_kind:     hidden_group_size_y
      - .offset:         160
        .size:           2
        .value_kind:     hidden_group_size_z
      - .offset:         162
        .size:           2
        .value_kind:     hidden_remainder_x
      - .offset:         164
        .size:           2
        .value_kind:     hidden_remainder_y
      - .offset:         166
        .size:           2
        .value_kind:     hidden_remainder_z
      - .offset:         184
        .size:           8
        .value_kind:     hidden_global_offset_x
      - .offset:         192
        .size:           8
        .value_kind:     hidden_global_offset_y
      - .offset:         200
        .size:           8
        .value_kind:     hidden_global_offset_z
      - .offset:         208
        .size:           2
        .value_kind:     hidden_grid_dims
    .group_segment_fixed_size: 1280
    .kernarg_segment_align: 8
    .kernarg_segment_size: 400
    .language:       OpenCL C
    .language_version:
      - 2
      - 0
    .max_flat_workgroup_size: 64
    .name:           _ZN9rocsparseL29bsrmmnt_small_blockdim_kernelILj64ELj16ELj2EllffffEEv20rocsparse_direction_T3_S2_llNS_24const_host_device_scalarIT7_EEPKT2_PKS2_PKT4_PKT5_llS5_PT6_ll16rocsparse_order_21rocsparse_index_base_b
    .private_segment_fixed_size: 0
    .sgpr_count:     40
    .sgpr_spill_count: 0
    .symbol:         _ZN9rocsparseL29bsrmmnt_small_blockdim_kernelILj64ELj16ELj2EllffffEEv20rocsparse_direction_T3_S2_llNS_24const_host_device_scalarIT7_EEPKT2_PKS2_PKT4_PKT5_llS5_PT6_ll16rocsparse_order_21rocsparse_index_base_b.kd
    .uniform_work_group_size: 1
    .uses_dynamic_stack: false
    .vgpr_count:     34
    .vgpr_spill_count: 0
    .wavefront_size: 64
  - .args:
      - .offset:         0
        .size:           4
        .value_kind:     by_value
      - .offset:         8
        .size:           8
        .value_kind:     by_value
      - .offset:         16
        .size:           8
        .value_kind:     by_value
      - .offset:         24
        .size:           8
        .value_kind:     by_value
      - .offset:         32
        .size:           8
        .value_kind:     by_value
      - .offset:         40
        .size:           8
        .value_kind:     by_value
      - .actual_access:  read_only
        .address_space:  global
        .offset:         48
        .size:           8
        .value_kind:     global_buffer
      - .actual_access:  read_only
        .address_space:  global
        .offset:         56
        .size:           8
        .value_kind:     global_buffer
      - .actual_access:  read_only
        .address_space:  global
        .offset:         64
        .size:           8
        .value_kind:     global_buffer
      - .actual_access:  read_only
        .address_space:  global
        .offset:         72
        .size:           8
        .value_kind:     global_buffer
      - .offset:         80
        .size:           8
        .value_kind:     by_value
      - .offset:         88
        .size:           8
        .value_kind:     by_value
      - .offset:         96
        .size:           8
        .value_kind:     by_value
      - .address_space:  global
        .offset:         104
        .size:           8
        .value_kind:     global_buffer
      - .offset:         112
        .size:           8
        .value_kind:     by_value
      - .offset:         120
        .size:           8
        .value_kind:     by_value
      - .offset:         128
        .size:           4
        .value_kind:     by_value
      - .offset:         132
        .size:           4
        .value_kind:     by_value
      - .offset:         136
        .size:           1
        .value_kind:     by_value
      - .offset:         144
        .size:           4
        .value_kind:     hidden_block_count_x
      - .offset:         148
        .size:           4
        .value_kind:     hidden_block_count_y
      - .offset:         152
        .size:           4
        .value_kind:     hidden_block_count_z
      - .offset:         156
        .size:           2
        .value_kind:     hidden_group_size_x
      - .offset:         158
        .size:           2
        .value_kind:     hidden_group_size_y
      - .offset:         160
        .size:           2
        .value_kind:     hidden_group_size_z
      - .offset:         162
        .size:           2
        .value_kind:     hidden_remainder_x
      - .offset:         164
        .size:           2
        .value_kind:     hidden_remainder_y
      - .offset:         166
        .size:           2
        .value_kind:     hidden_remainder_z
      - .offset:         184
        .size:           8
        .value_kind:     hidden_global_offset_x
      - .offset:         192
        .size:           8
        .value_kind:     hidden_global_offset_y
      - .offset:         200
        .size:           8
        .value_kind:     hidden_global_offset_z
      - .offset:         208
        .size:           2
        .value_kind:     hidden_grid_dims
    .group_segment_fixed_size: 1280
    .kernarg_segment_align: 8
    .kernarg_segment_size: 400
    .language:       OpenCL C
    .language_version:
      - 2
      - 0
    .max_flat_workgroup_size: 64
    .name:           _ZN9rocsparseL29bsrmmnt_small_blockdim_kernelILj64ELj32ELj2EllffffEEv20rocsparse_direction_T3_S2_llNS_24const_host_device_scalarIT7_EEPKT2_PKS2_PKT4_PKT5_llS5_PT6_ll16rocsparse_order_21rocsparse_index_base_b
    .private_segment_fixed_size: 0
    .sgpr_count:     40
    .sgpr_spill_count: 0
    .symbol:         _ZN9rocsparseL29bsrmmnt_small_blockdim_kernelILj64ELj32ELj2EllffffEEv20rocsparse_direction_T3_S2_llNS_24const_host_device_scalarIT7_EEPKT2_PKS2_PKT4_PKT5_llS5_PT6_ll16rocsparse_order_21rocsparse_index_base_b.kd
    .uniform_work_group_size: 1
    .uses_dynamic_stack: false
    .vgpr_count:     34
    .vgpr_spill_count: 0
    .wavefront_size: 64
  - .args:
      - .offset:         0
        .size:           4
        .value_kind:     by_value
      - .offset:         8
        .size:           8
        .value_kind:     by_value
      - .offset:         16
        .size:           8
        .value_kind:     by_value
      - .offset:         24
        .size:           8
        .value_kind:     by_value
      - .offset:         32
        .size:           8
        .value_kind:     by_value
      - .offset:         40
        .size:           8
        .value_kind:     by_value
      - .actual_access:  read_only
        .address_space:  global
        .offset:         48
        .size:           8
        .value_kind:     global_buffer
      - .actual_access:  read_only
        .address_space:  global
        .offset:         56
        .size:           8
        .value_kind:     global_buffer
      - .actual_access:  read_only
        .address_space:  global
        .offset:         64
        .size:           8
        .value_kind:     global_buffer
      - .actual_access:  read_only
        .address_space:  global
        .offset:         72
        .size:           8
        .value_kind:     global_buffer
      - .offset:         80
        .size:           8
        .value_kind:     by_value
      - .offset:         88
        .size:           8
        .value_kind:     by_value
      - .offset:         96
        .size:           8
        .value_kind:     by_value
      - .address_space:  global
        .offset:         104
        .size:           8
        .value_kind:     global_buffer
      - .offset:         112
        .size:           8
        .value_kind:     by_value
      - .offset:         120
        .size:           8
        .value_kind:     by_value
      - .offset:         128
        .size:           4
        .value_kind:     by_value
      - .offset:         132
        .size:           4
        .value_kind:     by_value
      - .offset:         136
        .size:           1
        .value_kind:     by_value
      - .offset:         144
        .size:           4
        .value_kind:     hidden_block_count_x
      - .offset:         148
        .size:           4
        .value_kind:     hidden_block_count_y
      - .offset:         152
        .size:           4
        .value_kind:     hidden_block_count_z
      - .offset:         156
        .size:           2
        .value_kind:     hidden_group_size_x
      - .offset:         158
        .size:           2
        .value_kind:     hidden_group_size_y
      - .offset:         160
        .size:           2
        .value_kind:     hidden_group_size_z
      - .offset:         162
        .size:           2
        .value_kind:     hidden_remainder_x
      - .offset:         164
        .size:           2
        .value_kind:     hidden_remainder_y
      - .offset:         166
        .size:           2
        .value_kind:     hidden_remainder_z
      - .offset:         184
        .size:           8
        .value_kind:     hidden_global_offset_x
      - .offset:         192
        .size:           8
        .value_kind:     hidden_global_offset_y
      - .offset:         200
        .size:           8
        .value_kind:     hidden_global_offset_z
      - .offset:         208
        .size:           2
        .value_kind:     hidden_grid_dims
    .group_segment_fixed_size: 1280
    .kernarg_segment_align: 8
    .kernarg_segment_size: 400
    .language:       OpenCL C
    .language_version:
      - 2
      - 0
    .max_flat_workgroup_size: 64
    .name:           _ZN9rocsparseL29bsrmmnt_small_blockdim_kernelILj64ELj64ELj2EllffffEEv20rocsparse_direction_T3_S2_llNS_24const_host_device_scalarIT7_EEPKT2_PKS2_PKT4_PKT5_llS5_PT6_ll16rocsparse_order_21rocsparse_index_base_b
    .private_segment_fixed_size: 0
    .sgpr_count:     40
    .sgpr_spill_count: 0
    .symbol:         _ZN9rocsparseL29bsrmmnt_small_blockdim_kernelILj64ELj64ELj2EllffffEEv20rocsparse_direction_T3_S2_llNS_24const_host_device_scalarIT7_EEPKT2_PKS2_PKT4_PKT5_llS5_PT6_ll16rocsparse_order_21rocsparse_index_base_b.kd
    .uniform_work_group_size: 1
    .uses_dynamic_stack: false
    .vgpr_count:     34
    .vgpr_spill_count: 0
    .wavefront_size: 64
  - .args:
      - .offset:         0
        .size:           4
        .value_kind:     by_value
      - .offset:         4
        .size:           4
        .value_kind:     by_value
      - .offset:         8
        .size:           4
        .value_kind:     by_value
      - .offset:         16
        .size:           8
        .value_kind:     by_value
      - .offset:         24
        .size:           8
        .value_kind:     by_value
      - .offset:         32
        .size:           8
        .value_kind:     by_value
      - .actual_access:  read_only
        .address_space:  global
        .offset:         40
        .size:           8
        .value_kind:     global_buffer
      - .actual_access:  read_only
        .address_space:  global
        .offset:         48
        .size:           8
        .value_kind:     global_buffer
      - .actual_access:  read_only
        .address_space:  global
        .offset:         56
        .size:           8
        .value_kind:     global_buffer
      - .actual_access:  read_only
        .address_space:  global
        .offset:         64
        .size:           8
        .value_kind:     global_buffer
      - .offset:         72
        .size:           8
        .value_kind:     by_value
      - .offset:         80
        .size:           8
        .value_kind:     by_value
      - .offset:         88
        .size:           8
        .value_kind:     by_value
      - .address_space:  global
        .offset:         96
        .size:           8
        .value_kind:     global_buffer
      - .offset:         104
        .size:           8
        .value_kind:     by_value
      - .offset:         112
        .size:           8
        .value_kind:     by_value
      - .offset:         120
        .size:           4
        .value_kind:     by_value
      - .offset:         124
        .size:           4
        .value_kind:     by_value
      - .offset:         128
        .size:           1
        .value_kind:     by_value
      - .offset:         136
        .size:           4
        .value_kind:     hidden_block_count_x
      - .offset:         140
        .size:           4
        .value_kind:     hidden_block_count_y
      - .offset:         144
        .size:           4
        .value_kind:     hidden_block_count_z
      - .offset:         148
        .size:           2
        .value_kind:     hidden_group_size_x
      - .offset:         150
        .size:           2
        .value_kind:     hidden_group_size_y
      - .offset:         152
        .size:           2
        .value_kind:     hidden_group_size_z
      - .offset:         154
        .size:           2
        .value_kind:     hidden_remainder_x
      - .offset:         156
        .size:           2
        .value_kind:     hidden_remainder_y
      - .offset:         158
        .size:           2
        .value_kind:     hidden_remainder_z
      - .offset:         176
        .size:           8
        .value_kind:     hidden_global_offset_x
      - .offset:         184
        .size:           8
        .value_kind:     hidden_global_offset_y
      - .offset:         192
        .size:           8
        .value_kind:     hidden_global_offset_z
      - .offset:         200
        .size:           2
        .value_kind:     hidden_grid_dims
    .group_segment_fixed_size: 1792
    .kernarg_segment_align: 8
    .kernarg_segment_size: 392
    .language:       OpenCL C
    .language_version:
      - 2
      - 0
    .max_flat_workgroup_size: 64
    .name:           _ZN9rocsparseL29bsrmmnt_small_blockdim_kernelILj64ELj8ELj2EiiddddEEv20rocsparse_direction_T3_S2_llNS_24const_host_device_scalarIT7_EEPKT2_PKS2_PKT4_PKT5_llS5_PT6_ll16rocsparse_order_21rocsparse_index_base_b
    .private_segment_fixed_size: 0
    .sgpr_count:     32
    .sgpr_spill_count: 0
    .symbol:         _ZN9rocsparseL29bsrmmnt_small_blockdim_kernelILj64ELj8ELj2EiiddddEEv20rocsparse_direction_T3_S2_llNS_24const_host_device_scalarIT7_EEPKT2_PKS2_PKT4_PKT5_llS5_PT6_ll16rocsparse_order_21rocsparse_index_base_b.kd
    .uniform_work_group_size: 1
    .uses_dynamic_stack: false
    .vgpr_count:     43
    .vgpr_spill_count: 0
    .wavefront_size: 64
  - .args:
      - .offset:         0
        .size:           4
        .value_kind:     by_value
      - .offset:         4
        .size:           4
        .value_kind:     by_value
      - .offset:         8
        .size:           4
        .value_kind:     by_value
      - .offset:         16
        .size:           8
        .value_kind:     by_value
      - .offset:         24
        .size:           8
        .value_kind:     by_value
      - .offset:         32
        .size:           8
        .value_kind:     by_value
      - .actual_access:  read_only
        .address_space:  global
        .offset:         40
        .size:           8
        .value_kind:     global_buffer
      - .actual_access:  read_only
        .address_space:  global
        .offset:         48
        .size:           8
        .value_kind:     global_buffer
      - .actual_access:  read_only
        .address_space:  global
        .offset:         56
        .size:           8
        .value_kind:     global_buffer
      - .actual_access:  read_only
        .address_space:  global
        .offset:         64
        .size:           8
        .value_kind:     global_buffer
      - .offset:         72
        .size:           8
        .value_kind:     by_value
      - .offset:         80
        .size:           8
        .value_kind:     by_value
      - .offset:         88
        .size:           8
        .value_kind:     by_value
      - .address_space:  global
        .offset:         96
        .size:           8
        .value_kind:     global_buffer
      - .offset:         104
        .size:           8
        .value_kind:     by_value
      - .offset:         112
        .size:           8
        .value_kind:     by_value
      - .offset:         120
        .size:           4
        .value_kind:     by_value
      - .offset:         124
        .size:           4
        .value_kind:     by_value
      - .offset:         128
        .size:           1
        .value_kind:     by_value
      - .offset:         136
        .size:           4
        .value_kind:     hidden_block_count_x
      - .offset:         140
        .size:           4
        .value_kind:     hidden_block_count_y
      - .offset:         144
        .size:           4
        .value_kind:     hidden_block_count_z
      - .offset:         148
        .size:           2
        .value_kind:     hidden_group_size_x
      - .offset:         150
        .size:           2
        .value_kind:     hidden_group_size_y
      - .offset:         152
        .size:           2
        .value_kind:     hidden_group_size_z
      - .offset:         154
        .size:           2
        .value_kind:     hidden_remainder_x
      - .offset:         156
        .size:           2
        .value_kind:     hidden_remainder_y
      - .offset:         158
        .size:           2
        .value_kind:     hidden_remainder_z
      - .offset:         176
        .size:           8
        .value_kind:     hidden_global_offset_x
      - .offset:         184
        .size:           8
        .value_kind:     hidden_global_offset_y
      - .offset:         192
        .size:           8
        .value_kind:     hidden_global_offset_z
      - .offset:         200
        .size:           2
        .value_kind:     hidden_grid_dims
    .group_segment_fixed_size: 1792
    .kernarg_segment_align: 8
    .kernarg_segment_size: 392
    .language:       OpenCL C
    .language_version:
      - 2
      - 0
    .max_flat_workgroup_size: 64
    .name:           _ZN9rocsparseL29bsrmmnt_small_blockdim_kernelILj64ELj16ELj2EiiddddEEv20rocsparse_direction_T3_S2_llNS_24const_host_device_scalarIT7_EEPKT2_PKS2_PKT4_PKT5_llS5_PT6_ll16rocsparse_order_21rocsparse_index_base_b
    .private_segment_fixed_size: 0
    .sgpr_count:     32
    .sgpr_spill_count: 0
    .symbol:         _ZN9rocsparseL29bsrmmnt_small_blockdim_kernelILj64ELj16ELj2EiiddddEEv20rocsparse_direction_T3_S2_llNS_24const_host_device_scalarIT7_EEPKT2_PKS2_PKT4_PKT5_llS5_PT6_ll16rocsparse_order_21rocsparse_index_base_b.kd
    .uniform_work_group_size: 1
    .uses_dynamic_stack: false
    .vgpr_count:     43
    .vgpr_spill_count: 0
    .wavefront_size: 64
  - .args:
      - .offset:         0
        .size:           4
        .value_kind:     by_value
      - .offset:         4
        .size:           4
        .value_kind:     by_value
      - .offset:         8
        .size:           4
        .value_kind:     by_value
      - .offset:         16
        .size:           8
        .value_kind:     by_value
      - .offset:         24
        .size:           8
        .value_kind:     by_value
      - .offset:         32
        .size:           8
        .value_kind:     by_value
      - .actual_access:  read_only
        .address_space:  global
        .offset:         40
        .size:           8
        .value_kind:     global_buffer
      - .actual_access:  read_only
        .address_space:  global
        .offset:         48
        .size:           8
        .value_kind:     global_buffer
      - .actual_access:  read_only
        .address_space:  global
        .offset:         56
        .size:           8
        .value_kind:     global_buffer
      - .actual_access:  read_only
        .address_space:  global
        .offset:         64
        .size:           8
        .value_kind:     global_buffer
      - .offset:         72
        .size:           8
        .value_kind:     by_value
      - .offset:         80
        .size:           8
        .value_kind:     by_value
      - .offset:         88
        .size:           8
        .value_kind:     by_value
      - .address_space:  global
        .offset:         96
        .size:           8
        .value_kind:     global_buffer
      - .offset:         104
        .size:           8
        .value_kind:     by_value
      - .offset:         112
        .size:           8
        .value_kind:     by_value
      - .offset:         120
        .size:           4
        .value_kind:     by_value
      - .offset:         124
        .size:           4
        .value_kind:     by_value
      - .offset:         128
        .size:           1
        .value_kind:     by_value
      - .offset:         136
        .size:           4
        .value_kind:     hidden_block_count_x
      - .offset:         140
        .size:           4
        .value_kind:     hidden_block_count_y
      - .offset:         144
        .size:           4
        .value_kind:     hidden_block_count_z
      - .offset:         148
        .size:           2
        .value_kind:     hidden_group_size_x
      - .offset:         150
        .size:           2
        .value_kind:     hidden_group_size_y
      - .offset:         152
        .size:           2
        .value_kind:     hidden_group_size_z
      - .offset:         154
        .size:           2
        .value_kind:     hidden_remainder_x
      - .offset:         156
        .size:           2
        .value_kind:     hidden_remainder_y
      - .offset:         158
        .size:           2
        .value_kind:     hidden_remainder_z
      - .offset:         176
        .size:           8
        .value_kind:     hidden_global_offset_x
      - .offset:         184
        .size:           8
        .value_kind:     hidden_global_offset_y
      - .offset:         192
        .size:           8
        .value_kind:     hidden_global_offset_z
      - .offset:         200
        .size:           2
        .value_kind:     hidden_grid_dims
    .group_segment_fixed_size: 1792
    .kernarg_segment_align: 8
    .kernarg_segment_size: 392
    .language:       OpenCL C
    .language_version:
      - 2
      - 0
    .max_flat_workgroup_size: 64
    .name:           _ZN9rocsparseL29bsrmmnt_small_blockdim_kernelILj64ELj32ELj2EiiddddEEv20rocsparse_direction_T3_S2_llNS_24const_host_device_scalarIT7_EEPKT2_PKS2_PKT4_PKT5_llS5_PT6_ll16rocsparse_order_21rocsparse_index_base_b
    .private_segment_fixed_size: 0
    .sgpr_count:     32
    .sgpr_spill_count: 0
    .symbol:         _ZN9rocsparseL29bsrmmnt_small_blockdim_kernelILj64ELj32ELj2EiiddddEEv20rocsparse_direction_T3_S2_llNS_24const_host_device_scalarIT7_EEPKT2_PKS2_PKT4_PKT5_llS5_PT6_ll16rocsparse_order_21rocsparse_index_base_b.kd
    .uniform_work_group_size: 1
    .uses_dynamic_stack: false
    .vgpr_count:     43
    .vgpr_spill_count: 0
    .wavefront_size: 64
  - .args:
      - .offset:         0
        .size:           4
        .value_kind:     by_value
      - .offset:         4
        .size:           4
        .value_kind:     by_value
      - .offset:         8
        .size:           4
        .value_kind:     by_value
      - .offset:         16
        .size:           8
        .value_kind:     by_value
      - .offset:         24
        .size:           8
        .value_kind:     by_value
      - .offset:         32
        .size:           8
        .value_kind:     by_value
      - .actual_access:  read_only
        .address_space:  global
        .offset:         40
        .size:           8
        .value_kind:     global_buffer
      - .actual_access:  read_only
        .address_space:  global
        .offset:         48
        .size:           8
        .value_kind:     global_buffer
      - .actual_access:  read_only
        .address_space:  global
        .offset:         56
        .size:           8
        .value_kind:     global_buffer
      - .actual_access:  read_only
        .address_space:  global
        .offset:         64
        .size:           8
        .value_kind:     global_buffer
      - .offset:         72
        .size:           8
        .value_kind:     by_value
      - .offset:         80
        .size:           8
        .value_kind:     by_value
      - .offset:         88
        .size:           8
        .value_kind:     by_value
      - .address_space:  global
        .offset:         96
        .size:           8
        .value_kind:     global_buffer
      - .offset:         104
        .size:           8
        .value_kind:     by_value
      - .offset:         112
        .size:           8
        .value_kind:     by_value
      - .offset:         120
        .size:           4
        .value_kind:     by_value
      - .offset:         124
        .size:           4
        .value_kind:     by_value
      - .offset:         128
        .size:           1
        .value_kind:     by_value
      - .offset:         136
        .size:           4
        .value_kind:     hidden_block_count_x
      - .offset:         140
        .size:           4
        .value_kind:     hidden_block_count_y
      - .offset:         144
        .size:           4
        .value_kind:     hidden_block_count_z
      - .offset:         148
        .size:           2
        .value_kind:     hidden_group_size_x
      - .offset:         150
        .size:           2
        .value_kind:     hidden_group_size_y
      - .offset:         152
        .size:           2
        .value_kind:     hidden_group_size_z
      - .offset:         154
        .size:           2
        .value_kind:     hidden_remainder_x
      - .offset:         156
        .size:           2
        .value_kind:     hidden_remainder_y
      - .offset:         158
        .size:           2
        .value_kind:     hidden_remainder_z
      - .offset:         176
        .size:           8
        .value_kind:     hidden_global_offset_x
      - .offset:         184
        .size:           8
        .value_kind:     hidden_global_offset_y
      - .offset:         192
        .size:           8
        .value_kind:     hidden_global_offset_z
      - .offset:         200
        .size:           2
        .value_kind:     hidden_grid_dims
    .group_segment_fixed_size: 1792
    .kernarg_segment_align: 8
    .kernarg_segment_size: 392
    .language:       OpenCL C
    .language_version:
      - 2
      - 0
    .max_flat_workgroup_size: 64
    .name:           _ZN9rocsparseL29bsrmmnt_small_blockdim_kernelILj64ELj64ELj2EiiddddEEv20rocsparse_direction_T3_S2_llNS_24const_host_device_scalarIT7_EEPKT2_PKS2_PKT4_PKT5_llS5_PT6_ll16rocsparse_order_21rocsparse_index_base_b
    .private_segment_fixed_size: 0
    .sgpr_count:     32
    .sgpr_spill_count: 0
    .symbol:         _ZN9rocsparseL29bsrmmnt_small_blockdim_kernelILj64ELj64ELj2EiiddddEEv20rocsparse_direction_T3_S2_llNS_24const_host_device_scalarIT7_EEPKT2_PKS2_PKT4_PKT5_llS5_PT6_ll16rocsparse_order_21rocsparse_index_base_b.kd
    .uniform_work_group_size: 1
    .uses_dynamic_stack: false
    .vgpr_count:     42
    .vgpr_spill_count: 0
    .wavefront_size: 64
  - .args:
      - .offset:         0
        .size:           4
        .value_kind:     by_value
      - .offset:         4
        .size:           4
        .value_kind:     by_value
      - .offset:         8
        .size:           4
        .value_kind:     by_value
      - .offset:         16
        .size:           8
        .value_kind:     by_value
      - .offset:         24
        .size:           8
        .value_kind:     by_value
      - .offset:         32
        .size:           8
        .value_kind:     by_value
      - .actual_access:  read_only
        .address_space:  global
        .offset:         40
        .size:           8
        .value_kind:     global_buffer
      - .actual_access:  read_only
        .address_space:  global
        .offset:         48
        .size:           8
        .value_kind:     global_buffer
      - .actual_access:  read_only
        .address_space:  global
        .offset:         56
        .size:           8
        .value_kind:     global_buffer
      - .actual_access:  read_only
        .address_space:  global
        .offset:         64
        .size:           8
        .value_kind:     global_buffer
      - .offset:         72
        .size:           8
        .value_kind:     by_value
      - .offset:         80
        .size:           8
        .value_kind:     by_value
      - .offset:         88
        .size:           8
        .value_kind:     by_value
      - .address_space:  global
        .offset:         96
        .size:           8
        .value_kind:     global_buffer
      - .offset:         104
        .size:           8
        .value_kind:     by_value
      - .offset:         112
        .size:           8
        .value_kind:     by_value
      - .offset:         120
        .size:           4
        .value_kind:     by_value
      - .offset:         124
        .size:           4
        .value_kind:     by_value
      - .offset:         128
        .size:           1
        .value_kind:     by_value
      - .offset:         136
        .size:           4
        .value_kind:     hidden_block_count_x
      - .offset:         140
        .size:           4
        .value_kind:     hidden_block_count_y
      - .offset:         144
        .size:           4
        .value_kind:     hidden_block_count_z
      - .offset:         148
        .size:           2
        .value_kind:     hidden_group_size_x
      - .offset:         150
        .size:           2
        .value_kind:     hidden_group_size_y
      - .offset:         152
        .size:           2
        .value_kind:     hidden_group_size_z
      - .offset:         154
        .size:           2
        .value_kind:     hidden_remainder_x
      - .offset:         156
        .size:           2
        .value_kind:     hidden_remainder_y
      - .offset:         158
        .size:           2
        .value_kind:     hidden_remainder_z
      - .offset:         176
        .size:           8
        .value_kind:     hidden_global_offset_x
      - .offset:         184
        .size:           8
        .value_kind:     hidden_global_offset_y
      - .offset:         192
        .size:           8
        .value_kind:     hidden_global_offset_z
      - .offset:         200
        .size:           2
        .value_kind:     hidden_grid_dims
    .group_segment_fixed_size: 1792
    .kernarg_segment_align: 8
    .kernarg_segment_size: 392
    .language:       OpenCL C
    .language_version:
      - 2
      - 0
    .max_flat_workgroup_size: 64
    .name:           _ZN9rocsparseL29bsrmmnt_small_blockdim_kernelILj64ELj8ELj2EliddddEEv20rocsparse_direction_T3_S2_llNS_24const_host_device_scalarIT7_EEPKT2_PKS2_PKT4_PKT5_llS5_PT6_ll16rocsparse_order_21rocsparse_index_base_b
    .private_segment_fixed_size: 0
    .sgpr_count:     32
    .sgpr_spill_count: 0
    .symbol:         _ZN9rocsparseL29bsrmmnt_small_blockdim_kernelILj64ELj8ELj2EliddddEEv20rocsparse_direction_T3_S2_llNS_24const_host_device_scalarIT7_EEPKT2_PKS2_PKT4_PKT5_llS5_PT6_ll16rocsparse_order_21rocsparse_index_base_b.kd
    .uniform_work_group_size: 1
    .uses_dynamic_stack: false
    .vgpr_count:     45
    .vgpr_spill_count: 0
    .wavefront_size: 64
  - .args:
      - .offset:         0
        .size:           4
        .value_kind:     by_value
      - .offset:         4
        .size:           4
        .value_kind:     by_value
      - .offset:         8
        .size:           4
        .value_kind:     by_value
      - .offset:         16
        .size:           8
        .value_kind:     by_value
      - .offset:         24
        .size:           8
        .value_kind:     by_value
      - .offset:         32
        .size:           8
        .value_kind:     by_value
      - .actual_access:  read_only
        .address_space:  global
        .offset:         40
        .size:           8
        .value_kind:     global_buffer
      - .actual_access:  read_only
        .address_space:  global
        .offset:         48
        .size:           8
        .value_kind:     global_buffer
      - .actual_access:  read_only
        .address_space:  global
        .offset:         56
        .size:           8
        .value_kind:     global_buffer
      - .actual_access:  read_only
        .address_space:  global
        .offset:         64
        .size:           8
        .value_kind:     global_buffer
      - .offset:         72
        .size:           8
        .value_kind:     by_value
      - .offset:         80
        .size:           8
        .value_kind:     by_value
      - .offset:         88
        .size:           8
        .value_kind:     by_value
      - .address_space:  global
        .offset:         96
        .size:           8
        .value_kind:     global_buffer
      - .offset:         104
        .size:           8
        .value_kind:     by_value
      - .offset:         112
        .size:           8
        .value_kind:     by_value
      - .offset:         120
        .size:           4
        .value_kind:     by_value
      - .offset:         124
        .size:           4
        .value_kind:     by_value
      - .offset:         128
        .size:           1
        .value_kind:     by_value
      - .offset:         136
        .size:           4
        .value_kind:     hidden_block_count_x
      - .offset:         140
        .size:           4
        .value_kind:     hidden_block_count_y
      - .offset:         144
        .size:           4
        .value_kind:     hidden_block_count_z
      - .offset:         148
        .size:           2
        .value_kind:     hidden_group_size_x
      - .offset:         150
        .size:           2
        .value_kind:     hidden_group_size_y
      - .offset:         152
        .size:           2
        .value_kind:     hidden_group_size_z
      - .offset:         154
        .size:           2
        .value_kind:     hidden_remainder_x
      - .offset:         156
        .size:           2
        .value_kind:     hidden_remainder_y
      - .offset:         158
        .size:           2
        .value_kind:     hidden_remainder_z
      - .offset:         176
        .size:           8
        .value_kind:     hidden_global_offset_x
      - .offset:         184
        .size:           8
        .value_kind:     hidden_global_offset_y
      - .offset:         192
        .size:           8
        .value_kind:     hidden_global_offset_z
      - .offset:         200
        .size:           2
        .value_kind:     hidden_grid_dims
    .group_segment_fixed_size: 1792
    .kernarg_segment_align: 8
    .kernarg_segment_size: 392
    .language:       OpenCL C
    .language_version:
      - 2
      - 0
    .max_flat_workgroup_size: 64
    .name:           _ZN9rocsparseL29bsrmmnt_small_blockdim_kernelILj64ELj16ELj2EliddddEEv20rocsparse_direction_T3_S2_llNS_24const_host_device_scalarIT7_EEPKT2_PKS2_PKT4_PKT5_llS5_PT6_ll16rocsparse_order_21rocsparse_index_base_b
    .private_segment_fixed_size: 0
    .sgpr_count:     32
    .sgpr_spill_count: 0
    .symbol:         _ZN9rocsparseL29bsrmmnt_small_blockdim_kernelILj64ELj16ELj2EliddddEEv20rocsparse_direction_T3_S2_llNS_24const_host_device_scalarIT7_EEPKT2_PKS2_PKT4_PKT5_llS5_PT6_ll16rocsparse_order_21rocsparse_index_base_b.kd
    .uniform_work_group_size: 1
    .uses_dynamic_stack: false
    .vgpr_count:     45
    .vgpr_spill_count: 0
    .wavefront_size: 64
  - .args:
      - .offset:         0
        .size:           4
        .value_kind:     by_value
      - .offset:         4
        .size:           4
        .value_kind:     by_value
      - .offset:         8
        .size:           4
        .value_kind:     by_value
      - .offset:         16
        .size:           8
        .value_kind:     by_value
      - .offset:         24
        .size:           8
        .value_kind:     by_value
      - .offset:         32
        .size:           8
        .value_kind:     by_value
      - .actual_access:  read_only
        .address_space:  global
        .offset:         40
        .size:           8
        .value_kind:     global_buffer
      - .actual_access:  read_only
        .address_space:  global
        .offset:         48
        .size:           8
        .value_kind:     global_buffer
      - .actual_access:  read_only
        .address_space:  global
        .offset:         56
        .size:           8
        .value_kind:     global_buffer
      - .actual_access:  read_only
        .address_space:  global
        .offset:         64
        .size:           8
        .value_kind:     global_buffer
      - .offset:         72
        .size:           8
        .value_kind:     by_value
      - .offset:         80
        .size:           8
        .value_kind:     by_value
      - .offset:         88
        .size:           8
        .value_kind:     by_value
      - .address_space:  global
        .offset:         96
        .size:           8
        .value_kind:     global_buffer
      - .offset:         104
        .size:           8
        .value_kind:     by_value
      - .offset:         112
        .size:           8
        .value_kind:     by_value
      - .offset:         120
        .size:           4
        .value_kind:     by_value
      - .offset:         124
        .size:           4
        .value_kind:     by_value
      - .offset:         128
        .size:           1
        .value_kind:     by_value
      - .offset:         136
        .size:           4
        .value_kind:     hidden_block_count_x
      - .offset:         140
        .size:           4
        .value_kind:     hidden_block_count_y
      - .offset:         144
        .size:           4
        .value_kind:     hidden_block_count_z
      - .offset:         148
        .size:           2
        .value_kind:     hidden_group_size_x
      - .offset:         150
        .size:           2
        .value_kind:     hidden_group_size_y
      - .offset:         152
        .size:           2
        .value_kind:     hidden_group_size_z
      - .offset:         154
        .size:           2
        .value_kind:     hidden_remainder_x
      - .offset:         156
        .size:           2
        .value_kind:     hidden_remainder_y
      - .offset:         158
        .size:           2
        .value_kind:     hidden_remainder_z
      - .offset:         176
        .size:           8
        .value_kind:     hidden_global_offset_x
      - .offset:         184
        .size:           8
        .value_kind:     hidden_global_offset_y
      - .offset:         192
        .size:           8
        .value_kind:     hidden_global_offset_z
      - .offset:         200
        .size:           2
        .value_kind:     hidden_grid_dims
    .group_segment_fixed_size: 1792
    .kernarg_segment_align: 8
    .kernarg_segment_size: 392
    .language:       OpenCL C
    .language_version:
      - 2
      - 0
    .max_flat_workgroup_size: 64
    .name:           _ZN9rocsparseL29bsrmmnt_small_blockdim_kernelILj64ELj32ELj2EliddddEEv20rocsparse_direction_T3_S2_llNS_24const_host_device_scalarIT7_EEPKT2_PKS2_PKT4_PKT5_llS5_PT6_ll16rocsparse_order_21rocsparse_index_base_b
    .private_segment_fixed_size: 0
    .sgpr_count:     32
    .sgpr_spill_count: 0
    .symbol:         _ZN9rocsparseL29bsrmmnt_small_blockdim_kernelILj64ELj32ELj2EliddddEEv20rocsparse_direction_T3_S2_llNS_24const_host_device_scalarIT7_EEPKT2_PKS2_PKT4_PKT5_llS5_PT6_ll16rocsparse_order_21rocsparse_index_base_b.kd
    .uniform_work_group_size: 1
    .uses_dynamic_stack: false
    .vgpr_count:     45
    .vgpr_spill_count: 0
    .wavefront_size: 64
  - .args:
      - .offset:         0
        .size:           4
        .value_kind:     by_value
      - .offset:         4
        .size:           4
        .value_kind:     by_value
      - .offset:         8
        .size:           4
        .value_kind:     by_value
      - .offset:         16
        .size:           8
        .value_kind:     by_value
      - .offset:         24
        .size:           8
        .value_kind:     by_value
      - .offset:         32
        .size:           8
        .value_kind:     by_value
      - .actual_access:  read_only
        .address_space:  global
        .offset:         40
        .size:           8
        .value_kind:     global_buffer
      - .actual_access:  read_only
        .address_space:  global
        .offset:         48
        .size:           8
        .value_kind:     global_buffer
      - .actual_access:  read_only
        .address_space:  global
        .offset:         56
        .size:           8
        .value_kind:     global_buffer
      - .actual_access:  read_only
        .address_space:  global
        .offset:         64
        .size:           8
        .value_kind:     global_buffer
      - .offset:         72
        .size:           8
        .value_kind:     by_value
      - .offset:         80
        .size:           8
        .value_kind:     by_value
      - .offset:         88
        .size:           8
        .value_kind:     by_value
      - .address_space:  global
        .offset:         96
        .size:           8
        .value_kind:     global_buffer
      - .offset:         104
        .size:           8
        .value_kind:     by_value
      - .offset:         112
        .size:           8
        .value_kind:     by_value
      - .offset:         120
        .size:           4
        .value_kind:     by_value
      - .offset:         124
        .size:           4
        .value_kind:     by_value
      - .offset:         128
        .size:           1
        .value_kind:     by_value
      - .offset:         136
        .size:           4
        .value_kind:     hidden_block_count_x
      - .offset:         140
        .size:           4
        .value_kind:     hidden_block_count_y
      - .offset:         144
        .size:           4
        .value_kind:     hidden_block_count_z
      - .offset:         148
        .size:           2
        .value_kind:     hidden_group_size_x
      - .offset:         150
        .size:           2
        .value_kind:     hidden_group_size_y
      - .offset:         152
        .size:           2
        .value_kind:     hidden_group_size_z
      - .offset:         154
        .size:           2
        .value_kind:     hidden_remainder_x
      - .offset:         156
        .size:           2
        .value_kind:     hidden_remainder_y
      - .offset:         158
        .size:           2
        .value_kind:     hidden_remainder_z
      - .offset:         176
        .size:           8
        .value_kind:     hidden_global_offset_x
      - .offset:         184
        .size:           8
        .value_kind:     hidden_global_offset_y
      - .offset:         192
        .size:           8
        .value_kind:     hidden_global_offset_z
      - .offset:         200
        .size:           2
        .value_kind:     hidden_grid_dims
    .group_segment_fixed_size: 1792
    .kernarg_segment_align: 8
    .kernarg_segment_size: 392
    .language:       OpenCL C
    .language_version:
      - 2
      - 0
    .max_flat_workgroup_size: 64
    .name:           _ZN9rocsparseL29bsrmmnt_small_blockdim_kernelILj64ELj64ELj2EliddddEEv20rocsparse_direction_T3_S2_llNS_24const_host_device_scalarIT7_EEPKT2_PKS2_PKT4_PKT5_llS5_PT6_ll16rocsparse_order_21rocsparse_index_base_b
    .private_segment_fixed_size: 0
    .sgpr_count:     32
    .sgpr_spill_count: 0
    .symbol:         _ZN9rocsparseL29bsrmmnt_small_blockdim_kernelILj64ELj64ELj2EliddddEEv20rocsparse_direction_T3_S2_llNS_24const_host_device_scalarIT7_EEPKT2_PKS2_PKT4_PKT5_llS5_PT6_ll16rocsparse_order_21rocsparse_index_base_b.kd
    .uniform_work_group_size: 1
    .uses_dynamic_stack: false
    .vgpr_count:     44
    .vgpr_spill_count: 0
    .wavefront_size: 64
  - .args:
      - .offset:         0
        .size:           4
        .value_kind:     by_value
      - .offset:         8
        .size:           8
        .value_kind:     by_value
      - .offset:         16
        .size:           8
        .value_kind:     by_value
      - .offset:         24
        .size:           8
        .value_kind:     by_value
      - .offset:         32
        .size:           8
        .value_kind:     by_value
      - .offset:         40
        .size:           8
        .value_kind:     by_value
      - .actual_access:  read_only
        .address_space:  global
        .offset:         48
        .size:           8
        .value_kind:     global_buffer
      - .actual_access:  read_only
        .address_space:  global
        .offset:         56
        .size:           8
        .value_kind:     global_buffer
      - .actual_access:  read_only
        .address_space:  global
        .offset:         64
        .size:           8
        .value_kind:     global_buffer
      - .actual_access:  read_only
        .address_space:  global
        .offset:         72
        .size:           8
        .value_kind:     global_buffer
      - .offset:         80
        .size:           8
        .value_kind:     by_value
      - .offset:         88
        .size:           8
        .value_kind:     by_value
      - .offset:         96
        .size:           8
        .value_kind:     by_value
      - .address_space:  global
        .offset:         104
        .size:           8
        .value_kind:     global_buffer
      - .offset:         112
        .size:           8
        .value_kind:     by_value
      - .offset:         120
        .size:           8
        .value_kind:     by_value
      - .offset:         128
        .size:           4
        .value_kind:     by_value
      - .offset:         132
        .size:           4
        .value_kind:     by_value
      - .offset:         136
        .size:           1
        .value_kind:     by_value
      - .offset:         144
        .size:           4
        .value_kind:     hidden_block_count_x
      - .offset:         148
        .size:           4
        .value_kind:     hidden_block_count_y
      - .offset:         152
        .size:           4
        .value_kind:     hidden_block_count_z
      - .offset:         156
        .size:           2
        .value_kind:     hidden_group_size_x
      - .offset:         158
        .size:           2
        .value_kind:     hidden_group_size_y
      - .offset:         160
        .size:           2
        .value_kind:     hidden_group_size_z
      - .offset:         162
        .size:           2
        .value_kind:     hidden_remainder_x
      - .offset:         164
        .size:           2
        .value_kind:     hidden_remainder_y
      - .offset:         166
        .size:           2
        .value_kind:     hidden_remainder_z
      - .offset:         184
        .size:           8
        .value_kind:     hidden_global_offset_x
      - .offset:         192
        .size:           8
        .value_kind:     hidden_global_offset_y
      - .offset:         200
        .size:           8
        .value_kind:     hidden_global_offset_z
      - .offset:         208
        .size:           2
        .value_kind:     hidden_grid_dims
    .group_segment_fixed_size: 2048
    .kernarg_segment_align: 8
    .kernarg_segment_size: 400
    .language:       OpenCL C
    .language_version:
      - 2
      - 0
    .max_flat_workgroup_size: 64
    .name:           _ZN9rocsparseL29bsrmmnt_small_blockdim_kernelILj64ELj8ELj2EllddddEEv20rocsparse_direction_T3_S2_llNS_24const_host_device_scalarIT7_EEPKT2_PKS2_PKT4_PKT5_llS5_PT6_ll16rocsparse_order_21rocsparse_index_base_b
    .private_segment_fixed_size: 0
    .sgpr_count:     35
    .sgpr_spill_count: 0
    .symbol:         _ZN9rocsparseL29bsrmmnt_small_blockdim_kernelILj64ELj8ELj2EllddddEEv20rocsparse_direction_T3_S2_llNS_24const_host_device_scalarIT7_EEPKT2_PKS2_PKT4_PKT5_llS5_PT6_ll16rocsparse_order_21rocsparse_index_base_b.kd
    .uniform_work_group_size: 1
    .uses_dynamic_stack: false
    .vgpr_count:     45
    .vgpr_spill_count: 0
    .wavefront_size: 64
  - .args:
      - .offset:         0
        .size:           4
        .value_kind:     by_value
      - .offset:         8
        .size:           8
        .value_kind:     by_value
      - .offset:         16
        .size:           8
        .value_kind:     by_value
      - .offset:         24
        .size:           8
        .value_kind:     by_value
      - .offset:         32
        .size:           8
        .value_kind:     by_value
      - .offset:         40
        .size:           8
        .value_kind:     by_value
      - .actual_access:  read_only
        .address_space:  global
        .offset:         48
        .size:           8
        .value_kind:     global_buffer
      - .actual_access:  read_only
        .address_space:  global
        .offset:         56
        .size:           8
        .value_kind:     global_buffer
      - .actual_access:  read_only
        .address_space:  global
        .offset:         64
        .size:           8
        .value_kind:     global_buffer
      - .actual_access:  read_only
        .address_space:  global
        .offset:         72
        .size:           8
        .value_kind:     global_buffer
      - .offset:         80
        .size:           8
        .value_kind:     by_value
      - .offset:         88
        .size:           8
        .value_kind:     by_value
      - .offset:         96
        .size:           8
        .value_kind:     by_value
      - .address_space:  global
        .offset:         104
        .size:           8
        .value_kind:     global_buffer
      - .offset:         112
        .size:           8
        .value_kind:     by_value
      - .offset:         120
        .size:           8
        .value_kind:     by_value
      - .offset:         128
        .size:           4
        .value_kind:     by_value
      - .offset:         132
        .size:           4
        .value_kind:     by_value
      - .offset:         136
        .size:           1
        .value_kind:     by_value
      - .offset:         144
        .size:           4
        .value_kind:     hidden_block_count_x
      - .offset:         148
        .size:           4
        .value_kind:     hidden_block_count_y
      - .offset:         152
        .size:           4
        .value_kind:     hidden_block_count_z
      - .offset:         156
        .size:           2
        .value_kind:     hidden_group_size_x
      - .offset:         158
        .size:           2
        .value_kind:     hidden_group_size_y
      - .offset:         160
        .size:           2
        .value_kind:     hidden_group_size_z
      - .offset:         162
        .size:           2
        .value_kind:     hidden_remainder_x
      - .offset:         164
        .size:           2
        .value_kind:     hidden_remainder_y
      - .offset:         166
        .size:           2
        .value_kind:     hidden_remainder_z
      - .offset:         184
        .size:           8
        .value_kind:     hidden_global_offset_x
      - .offset:         192
        .size:           8
        .value_kind:     hidden_global_offset_y
      - .offset:         200
        .size:           8
        .value_kind:     hidden_global_offset_z
      - .offset:         208
        .size:           2
        .value_kind:     hidden_grid_dims
    .group_segment_fixed_size: 2048
    .kernarg_segment_align: 8
    .kernarg_segment_size: 400
    .language:       OpenCL C
    .language_version:
      - 2
      - 0
    .max_flat_workgroup_size: 64
    .name:           _ZN9rocsparseL29bsrmmnt_small_blockdim_kernelILj64ELj16ELj2EllddddEEv20rocsparse_direction_T3_S2_llNS_24const_host_device_scalarIT7_EEPKT2_PKS2_PKT4_PKT5_llS5_PT6_ll16rocsparse_order_21rocsparse_index_base_b
    .private_segment_fixed_size: 0
    .sgpr_count:     35
    .sgpr_spill_count: 0
    .symbol:         _ZN9rocsparseL29bsrmmnt_small_blockdim_kernelILj64ELj16ELj2EllddddEEv20rocsparse_direction_T3_S2_llNS_24const_host_device_scalarIT7_EEPKT2_PKS2_PKT4_PKT5_llS5_PT6_ll16rocsparse_order_21rocsparse_index_base_b.kd
    .uniform_work_group_size: 1
    .uses_dynamic_stack: false
    .vgpr_count:     45
    .vgpr_spill_count: 0
    .wavefront_size: 64
  - .args:
      - .offset:         0
        .size:           4
        .value_kind:     by_value
      - .offset:         8
        .size:           8
        .value_kind:     by_value
      - .offset:         16
        .size:           8
        .value_kind:     by_value
      - .offset:         24
        .size:           8
        .value_kind:     by_value
      - .offset:         32
        .size:           8
        .value_kind:     by_value
      - .offset:         40
        .size:           8
        .value_kind:     by_value
      - .actual_access:  read_only
        .address_space:  global
        .offset:         48
        .size:           8
        .value_kind:     global_buffer
      - .actual_access:  read_only
        .address_space:  global
        .offset:         56
        .size:           8
        .value_kind:     global_buffer
      - .actual_access:  read_only
        .address_space:  global
        .offset:         64
        .size:           8
        .value_kind:     global_buffer
      - .actual_access:  read_only
        .address_space:  global
        .offset:         72
        .size:           8
        .value_kind:     global_buffer
      - .offset:         80
        .size:           8
        .value_kind:     by_value
      - .offset:         88
        .size:           8
        .value_kind:     by_value
      - .offset:         96
        .size:           8
        .value_kind:     by_value
      - .address_space:  global
        .offset:         104
        .size:           8
        .value_kind:     global_buffer
      - .offset:         112
        .size:           8
        .value_kind:     by_value
      - .offset:         120
        .size:           8
        .value_kind:     by_value
      - .offset:         128
        .size:           4
        .value_kind:     by_value
      - .offset:         132
        .size:           4
        .value_kind:     by_value
      - .offset:         136
        .size:           1
        .value_kind:     by_value
      - .offset:         144
        .size:           4
        .value_kind:     hidden_block_count_x
      - .offset:         148
        .size:           4
        .value_kind:     hidden_block_count_y
      - .offset:         152
        .size:           4
        .value_kind:     hidden_block_count_z
      - .offset:         156
        .size:           2
        .value_kind:     hidden_group_size_x
      - .offset:         158
        .size:           2
        .value_kind:     hidden_group_size_y
      - .offset:         160
        .size:           2
        .value_kind:     hidden_group_size_z
      - .offset:         162
        .size:           2
        .value_kind:     hidden_remainder_x
      - .offset:         164
        .size:           2
        .value_kind:     hidden_remainder_y
      - .offset:         166
        .size:           2
        .value_kind:     hidden_remainder_z
      - .offset:         184
        .size:           8
        .value_kind:     hidden_global_offset_x
      - .offset:         192
        .size:           8
        .value_kind:     hidden_global_offset_y
      - .offset:         200
        .size:           8
        .value_kind:     hidden_global_offset_z
      - .offset:         208
        .size:           2
        .value_kind:     hidden_grid_dims
    .group_segment_fixed_size: 2048
    .kernarg_segment_align: 8
    .kernarg_segment_size: 400
    .language:       OpenCL C
    .language_version:
      - 2
      - 0
    .max_flat_workgroup_size: 64
    .name:           _ZN9rocsparseL29bsrmmnt_small_blockdim_kernelILj64ELj32ELj2EllddddEEv20rocsparse_direction_T3_S2_llNS_24const_host_device_scalarIT7_EEPKT2_PKS2_PKT4_PKT5_llS5_PT6_ll16rocsparse_order_21rocsparse_index_base_b
    .private_segment_fixed_size: 0
    .sgpr_count:     35
    .sgpr_spill_count: 0
    .symbol:         _ZN9rocsparseL29bsrmmnt_small_blockdim_kernelILj64ELj32ELj2EllddddEEv20rocsparse_direction_T3_S2_llNS_24const_host_device_scalarIT7_EEPKT2_PKS2_PKT4_PKT5_llS5_PT6_ll16rocsparse_order_21rocsparse_index_base_b.kd
    .uniform_work_group_size: 1
    .uses_dynamic_stack: false
    .vgpr_count:     45
    .vgpr_spill_count: 0
    .wavefront_size: 64
  - .args:
      - .offset:         0
        .size:           4
        .value_kind:     by_value
      - .offset:         8
        .size:           8
        .value_kind:     by_value
      - .offset:         16
        .size:           8
        .value_kind:     by_value
      - .offset:         24
        .size:           8
        .value_kind:     by_value
      - .offset:         32
        .size:           8
        .value_kind:     by_value
      - .offset:         40
        .size:           8
        .value_kind:     by_value
      - .actual_access:  read_only
        .address_space:  global
        .offset:         48
        .size:           8
        .value_kind:     global_buffer
      - .actual_access:  read_only
        .address_space:  global
        .offset:         56
        .size:           8
        .value_kind:     global_buffer
      - .actual_access:  read_only
        .address_space:  global
        .offset:         64
        .size:           8
        .value_kind:     global_buffer
      - .actual_access:  read_only
        .address_space:  global
        .offset:         72
        .size:           8
        .value_kind:     global_buffer
      - .offset:         80
        .size:           8
        .value_kind:     by_value
      - .offset:         88
        .size:           8
        .value_kind:     by_value
      - .offset:         96
        .size:           8
        .value_kind:     by_value
      - .address_space:  global
        .offset:         104
        .size:           8
        .value_kind:     global_buffer
      - .offset:         112
        .size:           8
        .value_kind:     by_value
      - .offset:         120
        .size:           8
        .value_kind:     by_value
      - .offset:         128
        .size:           4
        .value_kind:     by_value
      - .offset:         132
        .size:           4
        .value_kind:     by_value
      - .offset:         136
        .size:           1
        .value_kind:     by_value
      - .offset:         144
        .size:           4
        .value_kind:     hidden_block_count_x
      - .offset:         148
        .size:           4
        .value_kind:     hidden_block_count_y
      - .offset:         152
        .size:           4
        .value_kind:     hidden_block_count_z
      - .offset:         156
        .size:           2
        .value_kind:     hidden_group_size_x
      - .offset:         158
        .size:           2
        .value_kind:     hidden_group_size_y
      - .offset:         160
        .size:           2
        .value_kind:     hidden_group_size_z
      - .offset:         162
        .size:           2
        .value_kind:     hidden_remainder_x
      - .offset:         164
        .size:           2
        .value_kind:     hidden_remainder_y
      - .offset:         166
        .size:           2
        .value_kind:     hidden_remainder_z
      - .offset:         184
        .size:           8
        .value_kind:     hidden_global_offset_x
      - .offset:         192
        .size:           8
        .value_kind:     hidden_global_offset_y
      - .offset:         200
        .size:           8
        .value_kind:     hidden_global_offset_z
      - .offset:         208
        .size:           2
        .value_kind:     hidden_grid_dims
    .group_segment_fixed_size: 2048
    .kernarg_segment_align: 8
    .kernarg_segment_size: 400
    .language:       OpenCL C
    .language_version:
      - 2
      - 0
    .max_flat_workgroup_size: 64
    .name:           _ZN9rocsparseL29bsrmmnt_small_blockdim_kernelILj64ELj64ELj2EllddddEEv20rocsparse_direction_T3_S2_llNS_24const_host_device_scalarIT7_EEPKT2_PKS2_PKT4_PKT5_llS5_PT6_ll16rocsparse_order_21rocsparse_index_base_b
    .private_segment_fixed_size: 0
    .sgpr_count:     35
    .sgpr_spill_count: 0
    .symbol:         _ZN9rocsparseL29bsrmmnt_small_blockdim_kernelILj64ELj64ELj2EllddddEEv20rocsparse_direction_T3_S2_llNS_24const_host_device_scalarIT7_EEPKT2_PKS2_PKT4_PKT5_llS5_PT6_ll16rocsparse_order_21rocsparse_index_base_b.kd
    .uniform_work_group_size: 1
    .uses_dynamic_stack: false
    .vgpr_count:     44
    .vgpr_spill_count: 0
    .wavefront_size: 64
  - .args:
      - .offset:         0
        .size:           4
        .value_kind:     by_value
      - .offset:         4
        .size:           4
        .value_kind:     by_value
      - .offset:         8
        .size:           4
        .value_kind:     by_value
      - .offset:         16
        .size:           8
        .value_kind:     by_value
      - .offset:         24
        .size:           8
        .value_kind:     by_value
      - .offset:         32
        .size:           8
        .value_kind:     by_value
      - .actual_access:  read_only
        .address_space:  global
        .offset:         40
        .size:           8
        .value_kind:     global_buffer
      - .actual_access:  read_only
        .address_space:  global
        .offset:         48
        .size:           8
        .value_kind:     global_buffer
      - .actual_access:  read_only
        .address_space:  global
        .offset:         56
        .size:           8
        .value_kind:     global_buffer
      - .actual_access:  read_only
        .address_space:  global
        .offset:         64
        .size:           8
        .value_kind:     global_buffer
      - .offset:         72
        .size:           8
        .value_kind:     by_value
      - .offset:         80
        .size:           8
        .value_kind:     by_value
      - .offset:         88
        .size:           8
        .value_kind:     by_value
      - .address_space:  global
        .offset:         96
        .size:           8
        .value_kind:     global_buffer
      - .offset:         104
        .size:           8
        .value_kind:     by_value
      - .offset:         112
        .size:           8
        .value_kind:     by_value
      - .offset:         120
        .size:           4
        .value_kind:     by_value
      - .offset:         124
        .size:           4
        .value_kind:     by_value
      - .offset:         128
        .size:           1
        .value_kind:     by_value
      - .offset:         136
        .size:           4
        .value_kind:     hidden_block_count_x
      - .offset:         140
        .size:           4
        .value_kind:     hidden_block_count_y
      - .offset:         144
        .size:           4
        .value_kind:     hidden_block_count_z
      - .offset:         148
        .size:           2
        .value_kind:     hidden_group_size_x
      - .offset:         150
        .size:           2
        .value_kind:     hidden_group_size_y
      - .offset:         152
        .size:           2
        .value_kind:     hidden_group_size_z
      - .offset:         154
        .size:           2
        .value_kind:     hidden_remainder_x
      - .offset:         156
        .size:           2
        .value_kind:     hidden_remainder_y
      - .offset:         158
        .size:           2
        .value_kind:     hidden_remainder_z
      - .offset:         176
        .size:           8
        .value_kind:     hidden_global_offset_x
      - .offset:         184
        .size:           8
        .value_kind:     hidden_global_offset_y
      - .offset:         192
        .size:           8
        .value_kind:     hidden_global_offset_z
      - .offset:         200
        .size:           2
        .value_kind:     hidden_grid_dims
    .group_segment_fixed_size: 1792
    .kernarg_segment_align: 8
    .kernarg_segment_size: 392
    .language:       OpenCL C
    .language_version:
      - 2
      - 0
    .max_flat_workgroup_size: 64
    .name:           _ZN9rocsparseL29bsrmmnt_small_blockdim_kernelILj64ELj8ELj2Eii21rocsparse_complex_numIfES2_S2_S2_EEv20rocsparse_direction_T3_S4_llNS_24const_host_device_scalarIT7_EEPKT2_PKS4_PKT4_PKT5_llS7_PT6_ll16rocsparse_order_21rocsparse_index_base_b
    .private_segment_fixed_size: 0
    .sgpr_count:     32
    .sgpr_spill_count: 0
    .symbol:         _ZN9rocsparseL29bsrmmnt_small_blockdim_kernelILj64ELj8ELj2Eii21rocsparse_complex_numIfES2_S2_S2_EEv20rocsparse_direction_T3_S4_llNS_24const_host_device_scalarIT7_EEPKT2_PKS4_PKT4_PKT5_llS7_PT6_ll16rocsparse_order_21rocsparse_index_base_b.kd
    .uniform_work_group_size: 1
    .uses_dynamic_stack: false
    .vgpr_count:     35
    .vgpr_spill_count: 0
    .wavefront_size: 64
  - .args:
      - .offset:         0
        .size:           4
        .value_kind:     by_value
      - .offset:         4
        .size:           4
        .value_kind:     by_value
      - .offset:         8
        .size:           4
        .value_kind:     by_value
      - .offset:         16
        .size:           8
        .value_kind:     by_value
      - .offset:         24
        .size:           8
        .value_kind:     by_value
      - .offset:         32
        .size:           8
        .value_kind:     by_value
      - .actual_access:  read_only
        .address_space:  global
        .offset:         40
        .size:           8
        .value_kind:     global_buffer
      - .actual_access:  read_only
        .address_space:  global
        .offset:         48
        .size:           8
        .value_kind:     global_buffer
      - .actual_access:  read_only
        .address_space:  global
        .offset:         56
        .size:           8
        .value_kind:     global_buffer
      - .actual_access:  read_only
        .address_space:  global
        .offset:         64
        .size:           8
        .value_kind:     global_buffer
      - .offset:         72
        .size:           8
        .value_kind:     by_value
      - .offset:         80
        .size:           8
        .value_kind:     by_value
      - .offset:         88
        .size:           8
        .value_kind:     by_value
      - .address_space:  global
        .offset:         96
        .size:           8
        .value_kind:     global_buffer
      - .offset:         104
        .size:           8
        .value_kind:     by_value
      - .offset:         112
        .size:           8
        .value_kind:     by_value
      - .offset:         120
        .size:           4
        .value_kind:     by_value
      - .offset:         124
        .size:           4
        .value_kind:     by_value
      - .offset:         128
        .size:           1
        .value_kind:     by_value
      - .offset:         136
        .size:           4
        .value_kind:     hidden_block_count_x
      - .offset:         140
        .size:           4
        .value_kind:     hidden_block_count_y
      - .offset:         144
        .size:           4
        .value_kind:     hidden_block_count_z
      - .offset:         148
        .size:           2
        .value_kind:     hidden_group_size_x
      - .offset:         150
        .size:           2
        .value_kind:     hidden_group_size_y
      - .offset:         152
        .size:           2
        .value_kind:     hidden_group_size_z
      - .offset:         154
        .size:           2
        .value_kind:     hidden_remainder_x
      - .offset:         156
        .size:           2
        .value_kind:     hidden_remainder_y
      - .offset:         158
        .size:           2
        .value_kind:     hidden_remainder_z
      - .offset:         176
        .size:           8
        .value_kind:     hidden_global_offset_x
      - .offset:         184
        .size:           8
        .value_kind:     hidden_global_offset_y
      - .offset:         192
        .size:           8
        .value_kind:     hidden_global_offset_z
      - .offset:         200
        .size:           2
        .value_kind:     hidden_grid_dims
    .group_segment_fixed_size: 1792
    .kernarg_segment_align: 8
    .kernarg_segment_size: 392
    .language:       OpenCL C
    .language_version:
      - 2
      - 0
    .max_flat_workgroup_size: 64
    .name:           _ZN9rocsparseL29bsrmmnt_small_blockdim_kernelILj64ELj16ELj2Eii21rocsparse_complex_numIfES2_S2_S2_EEv20rocsparse_direction_T3_S4_llNS_24const_host_device_scalarIT7_EEPKT2_PKS4_PKT4_PKT5_llS7_PT6_ll16rocsparse_order_21rocsparse_index_base_b
    .private_segment_fixed_size: 0
    .sgpr_count:     32
    .sgpr_spill_count: 0
    .symbol:         _ZN9rocsparseL29bsrmmnt_small_blockdim_kernelILj64ELj16ELj2Eii21rocsparse_complex_numIfES2_S2_S2_EEv20rocsparse_direction_T3_S4_llNS_24const_host_device_scalarIT7_EEPKT2_PKS4_PKT4_PKT5_llS7_PT6_ll16rocsparse_order_21rocsparse_index_base_b.kd
    .uniform_work_group_size: 1
    .uses_dynamic_stack: false
    .vgpr_count:     35
    .vgpr_spill_count: 0
    .wavefront_size: 64
  - .args:
      - .offset:         0
        .size:           4
        .value_kind:     by_value
      - .offset:         4
        .size:           4
        .value_kind:     by_value
      - .offset:         8
        .size:           4
        .value_kind:     by_value
      - .offset:         16
        .size:           8
        .value_kind:     by_value
      - .offset:         24
        .size:           8
        .value_kind:     by_value
      - .offset:         32
        .size:           8
        .value_kind:     by_value
      - .actual_access:  read_only
        .address_space:  global
        .offset:         40
        .size:           8
        .value_kind:     global_buffer
      - .actual_access:  read_only
        .address_space:  global
        .offset:         48
        .size:           8
        .value_kind:     global_buffer
      - .actual_access:  read_only
        .address_space:  global
        .offset:         56
        .size:           8
        .value_kind:     global_buffer
      - .actual_access:  read_only
        .address_space:  global
        .offset:         64
        .size:           8
        .value_kind:     global_buffer
      - .offset:         72
        .size:           8
        .value_kind:     by_value
      - .offset:         80
        .size:           8
        .value_kind:     by_value
      - .offset:         88
        .size:           8
        .value_kind:     by_value
      - .address_space:  global
        .offset:         96
        .size:           8
        .value_kind:     global_buffer
      - .offset:         104
        .size:           8
        .value_kind:     by_value
      - .offset:         112
        .size:           8
        .value_kind:     by_value
      - .offset:         120
        .size:           4
        .value_kind:     by_value
      - .offset:         124
        .size:           4
        .value_kind:     by_value
      - .offset:         128
        .size:           1
        .value_kind:     by_value
      - .offset:         136
        .size:           4
        .value_kind:     hidden_block_count_x
      - .offset:         140
        .size:           4
        .value_kind:     hidden_block_count_y
      - .offset:         144
        .size:           4
        .value_kind:     hidden_block_count_z
      - .offset:         148
        .size:           2
        .value_kind:     hidden_group_size_x
      - .offset:         150
        .size:           2
        .value_kind:     hidden_group_size_y
      - .offset:         152
        .size:           2
        .value_kind:     hidden_group_size_z
      - .offset:         154
        .size:           2
        .value_kind:     hidden_remainder_x
      - .offset:         156
        .size:           2
        .value_kind:     hidden_remainder_y
      - .offset:         158
        .size:           2
        .value_kind:     hidden_remainder_z
      - .offset:         176
        .size:           8
        .value_kind:     hidden_global_offset_x
      - .offset:         184
        .size:           8
        .value_kind:     hidden_global_offset_y
      - .offset:         192
        .size:           8
        .value_kind:     hidden_global_offset_z
      - .offset:         200
        .size:           2
        .value_kind:     hidden_grid_dims
    .group_segment_fixed_size: 1792
    .kernarg_segment_align: 8
    .kernarg_segment_size: 392
    .language:       OpenCL C
    .language_version:
      - 2
      - 0
    .max_flat_workgroup_size: 64
    .name:           _ZN9rocsparseL29bsrmmnt_small_blockdim_kernelILj64ELj32ELj2Eii21rocsparse_complex_numIfES2_S2_S2_EEv20rocsparse_direction_T3_S4_llNS_24const_host_device_scalarIT7_EEPKT2_PKS4_PKT4_PKT5_llS7_PT6_ll16rocsparse_order_21rocsparse_index_base_b
    .private_segment_fixed_size: 0
    .sgpr_count:     32
    .sgpr_spill_count: 0
    .symbol:         _ZN9rocsparseL29bsrmmnt_small_blockdim_kernelILj64ELj32ELj2Eii21rocsparse_complex_numIfES2_S2_S2_EEv20rocsparse_direction_T3_S4_llNS_24const_host_device_scalarIT7_EEPKT2_PKS4_PKT4_PKT5_llS7_PT6_ll16rocsparse_order_21rocsparse_index_base_b.kd
    .uniform_work_group_size: 1
    .uses_dynamic_stack: false
    .vgpr_count:     35
    .vgpr_spill_count: 0
    .wavefront_size: 64
  - .args:
      - .offset:         0
        .size:           4
        .value_kind:     by_value
      - .offset:         4
        .size:           4
        .value_kind:     by_value
      - .offset:         8
        .size:           4
        .value_kind:     by_value
      - .offset:         16
        .size:           8
        .value_kind:     by_value
      - .offset:         24
        .size:           8
        .value_kind:     by_value
      - .offset:         32
        .size:           8
        .value_kind:     by_value
      - .actual_access:  read_only
        .address_space:  global
        .offset:         40
        .size:           8
        .value_kind:     global_buffer
      - .actual_access:  read_only
        .address_space:  global
        .offset:         48
        .size:           8
        .value_kind:     global_buffer
      - .actual_access:  read_only
        .address_space:  global
        .offset:         56
        .size:           8
        .value_kind:     global_buffer
      - .actual_access:  read_only
        .address_space:  global
        .offset:         64
        .size:           8
        .value_kind:     global_buffer
      - .offset:         72
        .size:           8
        .value_kind:     by_value
      - .offset:         80
        .size:           8
        .value_kind:     by_value
      - .offset:         88
        .size:           8
        .value_kind:     by_value
      - .address_space:  global
        .offset:         96
        .size:           8
        .value_kind:     global_buffer
      - .offset:         104
        .size:           8
        .value_kind:     by_value
      - .offset:         112
        .size:           8
        .value_kind:     by_value
      - .offset:         120
        .size:           4
        .value_kind:     by_value
      - .offset:         124
        .size:           4
        .value_kind:     by_value
      - .offset:         128
        .size:           1
        .value_kind:     by_value
      - .offset:         136
        .size:           4
        .value_kind:     hidden_block_count_x
      - .offset:         140
        .size:           4
        .value_kind:     hidden_block_count_y
      - .offset:         144
        .size:           4
        .value_kind:     hidden_block_count_z
      - .offset:         148
        .size:           2
        .value_kind:     hidden_group_size_x
      - .offset:         150
        .size:           2
        .value_kind:     hidden_group_size_y
      - .offset:         152
        .size:           2
        .value_kind:     hidden_group_size_z
      - .offset:         154
        .size:           2
        .value_kind:     hidden_remainder_x
      - .offset:         156
        .size:           2
        .value_kind:     hidden_remainder_y
      - .offset:         158
        .size:           2
        .value_kind:     hidden_remainder_z
      - .offset:         176
        .size:           8
        .value_kind:     hidden_global_offset_x
      - .offset:         184
        .size:           8
        .value_kind:     hidden_global_offset_y
      - .offset:         192
        .size:           8
        .value_kind:     hidden_global_offset_z
      - .offset:         200
        .size:           2
        .value_kind:     hidden_grid_dims
    .group_segment_fixed_size: 1792
    .kernarg_segment_align: 8
    .kernarg_segment_size: 392
    .language:       OpenCL C
    .language_version:
      - 2
      - 0
    .max_flat_workgroup_size: 64
    .name:           _ZN9rocsparseL29bsrmmnt_small_blockdim_kernelILj64ELj64ELj2Eii21rocsparse_complex_numIfES2_S2_S2_EEv20rocsparse_direction_T3_S4_llNS_24const_host_device_scalarIT7_EEPKT2_PKS4_PKT4_PKT5_llS7_PT6_ll16rocsparse_order_21rocsparse_index_base_b
    .private_segment_fixed_size: 0
    .sgpr_count:     32
    .sgpr_spill_count: 0
    .symbol:         _ZN9rocsparseL29bsrmmnt_small_blockdim_kernelILj64ELj64ELj2Eii21rocsparse_complex_numIfES2_S2_S2_EEv20rocsparse_direction_T3_S4_llNS_24const_host_device_scalarIT7_EEPKT2_PKS4_PKT4_PKT5_llS7_PT6_ll16rocsparse_order_21rocsparse_index_base_b.kd
    .uniform_work_group_size: 1
    .uses_dynamic_stack: false
    .vgpr_count:     32
    .vgpr_spill_count: 0
    .wavefront_size: 64
  - .args:
      - .offset:         0
        .size:           4
        .value_kind:     by_value
      - .offset:         4
        .size:           4
        .value_kind:     by_value
      - .offset:         8
        .size:           4
        .value_kind:     by_value
      - .offset:         16
        .size:           8
        .value_kind:     by_value
      - .offset:         24
        .size:           8
        .value_kind:     by_value
      - .offset:         32
        .size:           8
        .value_kind:     by_value
      - .actual_access:  read_only
        .address_space:  global
        .offset:         40
        .size:           8
        .value_kind:     global_buffer
      - .actual_access:  read_only
        .address_space:  global
        .offset:         48
        .size:           8
        .value_kind:     global_buffer
      - .actual_access:  read_only
        .address_space:  global
        .offset:         56
        .size:           8
        .value_kind:     global_buffer
      - .actual_access:  read_only
        .address_space:  global
        .offset:         64
        .size:           8
        .value_kind:     global_buffer
      - .offset:         72
        .size:           8
        .value_kind:     by_value
      - .offset:         80
        .size:           8
        .value_kind:     by_value
      - .offset:         88
        .size:           8
        .value_kind:     by_value
      - .address_space:  global
        .offset:         96
        .size:           8
        .value_kind:     global_buffer
      - .offset:         104
        .size:           8
        .value_kind:     by_value
      - .offset:         112
        .size:           8
        .value_kind:     by_value
      - .offset:         120
        .size:           4
        .value_kind:     by_value
      - .offset:         124
        .size:           4
        .value_kind:     by_value
      - .offset:         128
        .size:           1
        .value_kind:     by_value
      - .offset:         136
        .size:           4
        .value_kind:     hidden_block_count_x
      - .offset:         140
        .size:           4
        .value_kind:     hidden_block_count_y
      - .offset:         144
        .size:           4
        .value_kind:     hidden_block_count_z
      - .offset:         148
        .size:           2
        .value_kind:     hidden_group_size_x
      - .offset:         150
        .size:           2
        .value_kind:     hidden_group_size_y
      - .offset:         152
        .size:           2
        .value_kind:     hidden_group_size_z
      - .offset:         154
        .size:           2
        .value_kind:     hidden_remainder_x
      - .offset:         156
        .size:           2
        .value_kind:     hidden_remainder_y
      - .offset:         158
        .size:           2
        .value_kind:     hidden_remainder_z
      - .offset:         176
        .size:           8
        .value_kind:     hidden_global_offset_x
      - .offset:         184
        .size:           8
        .value_kind:     hidden_global_offset_y
      - .offset:         192
        .size:           8
        .value_kind:     hidden_global_offset_z
      - .offset:         200
        .size:           2
        .value_kind:     hidden_grid_dims
    .group_segment_fixed_size: 1792
    .kernarg_segment_align: 8
    .kernarg_segment_size: 392
    .language:       OpenCL C
    .language_version:
      - 2
      - 0
    .max_flat_workgroup_size: 64
    .name:           _ZN9rocsparseL29bsrmmnt_small_blockdim_kernelILj64ELj8ELj2Eli21rocsparse_complex_numIfES2_S2_S2_EEv20rocsparse_direction_T3_S4_llNS_24const_host_device_scalarIT7_EEPKT2_PKS4_PKT4_PKT5_llS7_PT6_ll16rocsparse_order_21rocsparse_index_base_b
    .private_segment_fixed_size: 0
    .sgpr_count:     32
    .sgpr_spill_count: 0
    .symbol:         _ZN9rocsparseL29bsrmmnt_small_blockdim_kernelILj64ELj8ELj2Eli21rocsparse_complex_numIfES2_S2_S2_EEv20rocsparse_direction_T3_S4_llNS_24const_host_device_scalarIT7_EEPKT2_PKS4_PKT4_PKT5_llS7_PT6_ll16rocsparse_order_21rocsparse_index_base_b.kd
    .uniform_work_group_size: 1
    .uses_dynamic_stack: false
    .vgpr_count:     37
    .vgpr_spill_count: 0
    .wavefront_size: 64
  - .args:
      - .offset:         0
        .size:           4
        .value_kind:     by_value
      - .offset:         4
        .size:           4
        .value_kind:     by_value
      - .offset:         8
        .size:           4
        .value_kind:     by_value
      - .offset:         16
        .size:           8
        .value_kind:     by_value
      - .offset:         24
        .size:           8
        .value_kind:     by_value
      - .offset:         32
        .size:           8
        .value_kind:     by_value
      - .actual_access:  read_only
        .address_space:  global
        .offset:         40
        .size:           8
        .value_kind:     global_buffer
      - .actual_access:  read_only
        .address_space:  global
        .offset:         48
        .size:           8
        .value_kind:     global_buffer
      - .actual_access:  read_only
        .address_space:  global
        .offset:         56
        .size:           8
        .value_kind:     global_buffer
      - .actual_access:  read_only
        .address_space:  global
        .offset:         64
        .size:           8
        .value_kind:     global_buffer
      - .offset:         72
        .size:           8
        .value_kind:     by_value
      - .offset:         80
        .size:           8
        .value_kind:     by_value
      - .offset:         88
        .size:           8
        .value_kind:     by_value
      - .address_space:  global
        .offset:         96
        .size:           8
        .value_kind:     global_buffer
      - .offset:         104
        .size:           8
        .value_kind:     by_value
      - .offset:         112
        .size:           8
        .value_kind:     by_value
      - .offset:         120
        .size:           4
        .value_kind:     by_value
      - .offset:         124
        .size:           4
        .value_kind:     by_value
      - .offset:         128
        .size:           1
        .value_kind:     by_value
      - .offset:         136
        .size:           4
        .value_kind:     hidden_block_count_x
      - .offset:         140
        .size:           4
        .value_kind:     hidden_block_count_y
      - .offset:         144
        .size:           4
        .value_kind:     hidden_block_count_z
      - .offset:         148
        .size:           2
        .value_kind:     hidden_group_size_x
      - .offset:         150
        .size:           2
        .value_kind:     hidden_group_size_y
      - .offset:         152
        .size:           2
        .value_kind:     hidden_group_size_z
      - .offset:         154
        .size:           2
        .value_kind:     hidden_remainder_x
      - .offset:         156
        .size:           2
        .value_kind:     hidden_remainder_y
      - .offset:         158
        .size:           2
        .value_kind:     hidden_remainder_z
      - .offset:         176
        .size:           8
        .value_kind:     hidden_global_offset_x
      - .offset:         184
        .size:           8
        .value_kind:     hidden_global_offset_y
      - .offset:         192
        .size:           8
        .value_kind:     hidden_global_offset_z
      - .offset:         200
        .size:           2
        .value_kind:     hidden_grid_dims
    .group_segment_fixed_size: 1792
    .kernarg_segment_align: 8
    .kernarg_segment_size: 392
    .language:       OpenCL C
    .language_version:
      - 2
      - 0
    .max_flat_workgroup_size: 64
    .name:           _ZN9rocsparseL29bsrmmnt_small_blockdim_kernelILj64ELj16ELj2Eli21rocsparse_complex_numIfES2_S2_S2_EEv20rocsparse_direction_T3_S4_llNS_24const_host_device_scalarIT7_EEPKT2_PKS4_PKT4_PKT5_llS7_PT6_ll16rocsparse_order_21rocsparse_index_base_b
    .private_segment_fixed_size: 0
    .sgpr_count:     32
    .sgpr_spill_count: 0
    .symbol:         _ZN9rocsparseL29bsrmmnt_small_blockdim_kernelILj64ELj16ELj2Eli21rocsparse_complex_numIfES2_S2_S2_EEv20rocsparse_direction_T3_S4_llNS_24const_host_device_scalarIT7_EEPKT2_PKS4_PKT4_PKT5_llS7_PT6_ll16rocsparse_order_21rocsparse_index_base_b.kd
    .uniform_work_group_size: 1
    .uses_dynamic_stack: false
    .vgpr_count:     37
    .vgpr_spill_count: 0
    .wavefront_size: 64
  - .args:
      - .offset:         0
        .size:           4
        .value_kind:     by_value
      - .offset:         4
        .size:           4
        .value_kind:     by_value
      - .offset:         8
        .size:           4
        .value_kind:     by_value
      - .offset:         16
        .size:           8
        .value_kind:     by_value
      - .offset:         24
        .size:           8
        .value_kind:     by_value
      - .offset:         32
        .size:           8
        .value_kind:     by_value
      - .actual_access:  read_only
        .address_space:  global
        .offset:         40
        .size:           8
        .value_kind:     global_buffer
      - .actual_access:  read_only
        .address_space:  global
        .offset:         48
        .size:           8
        .value_kind:     global_buffer
      - .actual_access:  read_only
        .address_space:  global
        .offset:         56
        .size:           8
        .value_kind:     global_buffer
      - .actual_access:  read_only
        .address_space:  global
        .offset:         64
        .size:           8
        .value_kind:     global_buffer
      - .offset:         72
        .size:           8
        .value_kind:     by_value
      - .offset:         80
        .size:           8
        .value_kind:     by_value
      - .offset:         88
        .size:           8
        .value_kind:     by_value
      - .address_space:  global
        .offset:         96
        .size:           8
        .value_kind:     global_buffer
      - .offset:         104
        .size:           8
        .value_kind:     by_value
      - .offset:         112
        .size:           8
        .value_kind:     by_value
      - .offset:         120
        .size:           4
        .value_kind:     by_value
      - .offset:         124
        .size:           4
        .value_kind:     by_value
      - .offset:         128
        .size:           1
        .value_kind:     by_value
      - .offset:         136
        .size:           4
        .value_kind:     hidden_block_count_x
      - .offset:         140
        .size:           4
        .value_kind:     hidden_block_count_y
      - .offset:         144
        .size:           4
        .value_kind:     hidden_block_count_z
      - .offset:         148
        .size:           2
        .value_kind:     hidden_group_size_x
      - .offset:         150
        .size:           2
        .value_kind:     hidden_group_size_y
      - .offset:         152
        .size:           2
        .value_kind:     hidden_group_size_z
      - .offset:         154
        .size:           2
        .value_kind:     hidden_remainder_x
      - .offset:         156
        .size:           2
        .value_kind:     hidden_remainder_y
      - .offset:         158
        .size:           2
        .value_kind:     hidden_remainder_z
      - .offset:         176
        .size:           8
        .value_kind:     hidden_global_offset_x
      - .offset:         184
        .size:           8
        .value_kind:     hidden_global_offset_y
      - .offset:         192
        .size:           8
        .value_kind:     hidden_global_offset_z
      - .offset:         200
        .size:           2
        .value_kind:     hidden_grid_dims
    .group_segment_fixed_size: 1792
    .kernarg_segment_align: 8
    .kernarg_segment_size: 392
    .language:       OpenCL C
    .language_version:
      - 2
      - 0
    .max_flat_workgroup_size: 64
    .name:           _ZN9rocsparseL29bsrmmnt_small_blockdim_kernelILj64ELj32ELj2Eli21rocsparse_complex_numIfES2_S2_S2_EEv20rocsparse_direction_T3_S4_llNS_24const_host_device_scalarIT7_EEPKT2_PKS4_PKT4_PKT5_llS7_PT6_ll16rocsparse_order_21rocsparse_index_base_b
    .private_segment_fixed_size: 0
    .sgpr_count:     32
    .sgpr_spill_count: 0
    .symbol:         _ZN9rocsparseL29bsrmmnt_small_blockdim_kernelILj64ELj32ELj2Eli21rocsparse_complex_numIfES2_S2_S2_EEv20rocsparse_direction_T3_S4_llNS_24const_host_device_scalarIT7_EEPKT2_PKS4_PKT4_PKT5_llS7_PT6_ll16rocsparse_order_21rocsparse_index_base_b.kd
    .uniform_work_group_size: 1
    .uses_dynamic_stack: false
    .vgpr_count:     37
    .vgpr_spill_count: 0
    .wavefront_size: 64
  - .args:
      - .offset:         0
        .size:           4
        .value_kind:     by_value
      - .offset:         4
        .size:           4
        .value_kind:     by_value
      - .offset:         8
        .size:           4
        .value_kind:     by_value
      - .offset:         16
        .size:           8
        .value_kind:     by_value
      - .offset:         24
        .size:           8
        .value_kind:     by_value
      - .offset:         32
        .size:           8
        .value_kind:     by_value
      - .actual_access:  read_only
        .address_space:  global
        .offset:         40
        .size:           8
        .value_kind:     global_buffer
      - .actual_access:  read_only
        .address_space:  global
        .offset:         48
        .size:           8
        .value_kind:     global_buffer
      - .actual_access:  read_only
        .address_space:  global
        .offset:         56
        .size:           8
        .value_kind:     global_buffer
      - .actual_access:  read_only
        .address_space:  global
        .offset:         64
        .size:           8
        .value_kind:     global_buffer
      - .offset:         72
        .size:           8
        .value_kind:     by_value
      - .offset:         80
        .size:           8
        .value_kind:     by_value
      - .offset:         88
        .size:           8
        .value_kind:     by_value
      - .address_space:  global
        .offset:         96
        .size:           8
        .value_kind:     global_buffer
      - .offset:         104
        .size:           8
        .value_kind:     by_value
      - .offset:         112
        .size:           8
        .value_kind:     by_value
      - .offset:         120
        .size:           4
        .value_kind:     by_value
      - .offset:         124
        .size:           4
        .value_kind:     by_value
      - .offset:         128
        .size:           1
        .value_kind:     by_value
      - .offset:         136
        .size:           4
        .value_kind:     hidden_block_count_x
      - .offset:         140
        .size:           4
        .value_kind:     hidden_block_count_y
      - .offset:         144
        .size:           4
        .value_kind:     hidden_block_count_z
      - .offset:         148
        .size:           2
        .value_kind:     hidden_group_size_x
      - .offset:         150
        .size:           2
        .value_kind:     hidden_group_size_y
      - .offset:         152
        .size:           2
        .value_kind:     hidden_group_size_z
      - .offset:         154
        .size:           2
        .value_kind:     hidden_remainder_x
      - .offset:         156
        .size:           2
        .value_kind:     hidden_remainder_y
      - .offset:         158
        .size:           2
        .value_kind:     hidden_remainder_z
      - .offset:         176
        .size:           8
        .value_kind:     hidden_global_offset_x
      - .offset:         184
        .size:           8
        .value_kind:     hidden_global_offset_y
      - .offset:         192
        .size:           8
        .value_kind:     hidden_global_offset_z
      - .offset:         200
        .size:           2
        .value_kind:     hidden_grid_dims
    .group_segment_fixed_size: 1792
    .kernarg_segment_align: 8
    .kernarg_segment_size: 392
    .language:       OpenCL C
    .language_version:
      - 2
      - 0
    .max_flat_workgroup_size: 64
    .name:           _ZN9rocsparseL29bsrmmnt_small_blockdim_kernelILj64ELj64ELj2Eli21rocsparse_complex_numIfES2_S2_S2_EEv20rocsparse_direction_T3_S4_llNS_24const_host_device_scalarIT7_EEPKT2_PKS4_PKT4_PKT5_llS7_PT6_ll16rocsparse_order_21rocsparse_index_base_b
    .private_segment_fixed_size: 0
    .sgpr_count:     32
    .sgpr_spill_count: 0
    .symbol:         _ZN9rocsparseL29bsrmmnt_small_blockdim_kernelILj64ELj64ELj2Eli21rocsparse_complex_numIfES2_S2_S2_EEv20rocsparse_direction_T3_S4_llNS_24const_host_device_scalarIT7_EEPKT2_PKS4_PKT4_PKT5_llS7_PT6_ll16rocsparse_order_21rocsparse_index_base_b.kd
    .uniform_work_group_size: 1
    .uses_dynamic_stack: false
    .vgpr_count:     37
    .vgpr_spill_count: 0
    .wavefront_size: 64
  - .args:
      - .offset:         0
        .size:           4
        .value_kind:     by_value
      - .offset:         8
        .size:           8
        .value_kind:     by_value
      - .offset:         16
        .size:           8
        .value_kind:     by_value
      - .offset:         24
        .size:           8
        .value_kind:     by_value
      - .offset:         32
        .size:           8
        .value_kind:     by_value
      - .offset:         40
        .size:           8
        .value_kind:     by_value
      - .actual_access:  read_only
        .address_space:  global
        .offset:         48
        .size:           8
        .value_kind:     global_buffer
      - .actual_access:  read_only
        .address_space:  global
        .offset:         56
        .size:           8
        .value_kind:     global_buffer
      - .actual_access:  read_only
        .address_space:  global
        .offset:         64
        .size:           8
        .value_kind:     global_buffer
      - .actual_access:  read_only
        .address_space:  global
        .offset:         72
        .size:           8
        .value_kind:     global_buffer
      - .offset:         80
        .size:           8
        .value_kind:     by_value
      - .offset:         88
        .size:           8
        .value_kind:     by_value
      - .offset:         96
        .size:           8
        .value_kind:     by_value
      - .address_space:  global
        .offset:         104
        .size:           8
        .value_kind:     global_buffer
      - .offset:         112
        .size:           8
        .value_kind:     by_value
      - .offset:         120
        .size:           8
        .value_kind:     by_value
      - .offset:         128
        .size:           4
        .value_kind:     by_value
      - .offset:         132
        .size:           4
        .value_kind:     by_value
      - .offset:         136
        .size:           1
        .value_kind:     by_value
      - .offset:         144
        .size:           4
        .value_kind:     hidden_block_count_x
      - .offset:         148
        .size:           4
        .value_kind:     hidden_block_count_y
      - .offset:         152
        .size:           4
        .value_kind:     hidden_block_count_z
      - .offset:         156
        .size:           2
        .value_kind:     hidden_group_size_x
      - .offset:         158
        .size:           2
        .value_kind:     hidden_group_size_y
      - .offset:         160
        .size:           2
        .value_kind:     hidden_group_size_z
      - .offset:         162
        .size:           2
        .value_kind:     hidden_remainder_x
      - .offset:         164
        .size:           2
        .value_kind:     hidden_remainder_y
      - .offset:         166
        .size:           2
        .value_kind:     hidden_remainder_z
      - .offset:         184
        .size:           8
        .value_kind:     hidden_global_offset_x
      - .offset:         192
        .size:           8
        .value_kind:     hidden_global_offset_y
      - .offset:         200
        .size:           8
        .value_kind:     hidden_global_offset_z
      - .offset:         208
        .size:           2
        .value_kind:     hidden_grid_dims
    .group_segment_fixed_size: 2048
    .kernarg_segment_align: 8
    .kernarg_segment_size: 400
    .language:       OpenCL C
    .language_version:
      - 2
      - 0
    .max_flat_workgroup_size: 64
    .name:           _ZN9rocsparseL29bsrmmnt_small_blockdim_kernelILj64ELj8ELj2Ell21rocsparse_complex_numIfES2_S2_S2_EEv20rocsparse_direction_T3_S4_llNS_24const_host_device_scalarIT7_EEPKT2_PKS4_PKT4_PKT5_llS7_PT6_ll16rocsparse_order_21rocsparse_index_base_b
    .private_segment_fixed_size: 0
    .sgpr_count:     36
    .sgpr_spill_count: 0
    .symbol:         _ZN9rocsparseL29bsrmmnt_small_blockdim_kernelILj64ELj8ELj2Ell21rocsparse_complex_numIfES2_S2_S2_EEv20rocsparse_direction_T3_S4_llNS_24const_host_device_scalarIT7_EEPKT2_PKS4_PKT4_PKT5_llS7_PT6_ll16rocsparse_order_21rocsparse_index_base_b.kd
    .uniform_work_group_size: 1
    .uses_dynamic_stack: false
    .vgpr_count:     45
    .vgpr_spill_count: 0
    .wavefront_size: 64
  - .args:
      - .offset:         0
        .size:           4
        .value_kind:     by_value
      - .offset:         8
        .size:           8
        .value_kind:     by_value
      - .offset:         16
        .size:           8
        .value_kind:     by_value
      - .offset:         24
        .size:           8
        .value_kind:     by_value
      - .offset:         32
        .size:           8
        .value_kind:     by_value
      - .offset:         40
        .size:           8
        .value_kind:     by_value
      - .actual_access:  read_only
        .address_space:  global
        .offset:         48
        .size:           8
        .value_kind:     global_buffer
      - .actual_access:  read_only
        .address_space:  global
        .offset:         56
        .size:           8
        .value_kind:     global_buffer
      - .actual_access:  read_only
        .address_space:  global
        .offset:         64
        .size:           8
        .value_kind:     global_buffer
      - .actual_access:  read_only
        .address_space:  global
        .offset:         72
        .size:           8
        .value_kind:     global_buffer
      - .offset:         80
        .size:           8
        .value_kind:     by_value
      - .offset:         88
        .size:           8
        .value_kind:     by_value
      - .offset:         96
        .size:           8
        .value_kind:     by_value
      - .address_space:  global
        .offset:         104
        .size:           8
        .value_kind:     global_buffer
      - .offset:         112
        .size:           8
        .value_kind:     by_value
      - .offset:         120
        .size:           8
        .value_kind:     by_value
      - .offset:         128
        .size:           4
        .value_kind:     by_value
      - .offset:         132
        .size:           4
        .value_kind:     by_value
      - .offset:         136
        .size:           1
        .value_kind:     by_value
      - .offset:         144
        .size:           4
        .value_kind:     hidden_block_count_x
      - .offset:         148
        .size:           4
        .value_kind:     hidden_block_count_y
      - .offset:         152
        .size:           4
        .value_kind:     hidden_block_count_z
      - .offset:         156
        .size:           2
        .value_kind:     hidden_group_size_x
      - .offset:         158
        .size:           2
        .value_kind:     hidden_group_size_y
      - .offset:         160
        .size:           2
        .value_kind:     hidden_group_size_z
      - .offset:         162
        .size:           2
        .value_kind:     hidden_remainder_x
      - .offset:         164
        .size:           2
        .value_kind:     hidden_remainder_y
      - .offset:         166
        .size:           2
        .value_kind:     hidden_remainder_z
      - .offset:         184
        .size:           8
        .value_kind:     hidden_global_offset_x
      - .offset:         192
        .size:           8
        .value_kind:     hidden_global_offset_y
      - .offset:         200
        .size:           8
        .value_kind:     hidden_global_offset_z
      - .offset:         208
        .size:           2
        .value_kind:     hidden_grid_dims
    .group_segment_fixed_size: 2048
    .kernarg_segment_align: 8
    .kernarg_segment_size: 400
    .language:       OpenCL C
    .language_version:
      - 2
      - 0
    .max_flat_workgroup_size: 64
    .name:           _ZN9rocsparseL29bsrmmnt_small_blockdim_kernelILj64ELj16ELj2Ell21rocsparse_complex_numIfES2_S2_S2_EEv20rocsparse_direction_T3_S4_llNS_24const_host_device_scalarIT7_EEPKT2_PKS4_PKT4_PKT5_llS7_PT6_ll16rocsparse_order_21rocsparse_index_base_b
    .private_segment_fixed_size: 0
    .sgpr_count:     36
    .sgpr_spill_count: 0
    .symbol:         _ZN9rocsparseL29bsrmmnt_small_blockdim_kernelILj64ELj16ELj2Ell21rocsparse_complex_numIfES2_S2_S2_EEv20rocsparse_direction_T3_S4_llNS_24const_host_device_scalarIT7_EEPKT2_PKS4_PKT4_PKT5_llS7_PT6_ll16rocsparse_order_21rocsparse_index_base_b.kd
    .uniform_work_group_size: 1
    .uses_dynamic_stack: false
    .vgpr_count:     45
    .vgpr_spill_count: 0
    .wavefront_size: 64
  - .args:
      - .offset:         0
        .size:           4
        .value_kind:     by_value
      - .offset:         8
        .size:           8
        .value_kind:     by_value
      - .offset:         16
        .size:           8
        .value_kind:     by_value
      - .offset:         24
        .size:           8
        .value_kind:     by_value
      - .offset:         32
        .size:           8
        .value_kind:     by_value
      - .offset:         40
        .size:           8
        .value_kind:     by_value
      - .actual_access:  read_only
        .address_space:  global
        .offset:         48
        .size:           8
        .value_kind:     global_buffer
      - .actual_access:  read_only
        .address_space:  global
        .offset:         56
        .size:           8
        .value_kind:     global_buffer
      - .actual_access:  read_only
        .address_space:  global
        .offset:         64
        .size:           8
        .value_kind:     global_buffer
      - .actual_access:  read_only
        .address_space:  global
        .offset:         72
        .size:           8
        .value_kind:     global_buffer
      - .offset:         80
        .size:           8
        .value_kind:     by_value
      - .offset:         88
        .size:           8
        .value_kind:     by_value
      - .offset:         96
        .size:           8
        .value_kind:     by_value
      - .address_space:  global
        .offset:         104
        .size:           8
        .value_kind:     global_buffer
      - .offset:         112
        .size:           8
        .value_kind:     by_value
      - .offset:         120
        .size:           8
        .value_kind:     by_value
      - .offset:         128
        .size:           4
        .value_kind:     by_value
      - .offset:         132
        .size:           4
        .value_kind:     by_value
      - .offset:         136
        .size:           1
        .value_kind:     by_value
      - .offset:         144
        .size:           4
        .value_kind:     hidden_block_count_x
      - .offset:         148
        .size:           4
        .value_kind:     hidden_block_count_y
      - .offset:         152
        .size:           4
        .value_kind:     hidden_block_count_z
      - .offset:         156
        .size:           2
        .value_kind:     hidden_group_size_x
      - .offset:         158
        .size:           2
        .value_kind:     hidden_group_size_y
      - .offset:         160
        .size:           2
        .value_kind:     hidden_group_size_z
      - .offset:         162
        .size:           2
        .value_kind:     hidden_remainder_x
      - .offset:         164
        .size:           2
        .value_kind:     hidden_remainder_y
      - .offset:         166
        .size:           2
        .value_kind:     hidden_remainder_z
      - .offset:         184
        .size:           8
        .value_kind:     hidden_global_offset_x
      - .offset:         192
        .size:           8
        .value_kind:     hidden_global_offset_y
      - .offset:         200
        .size:           8
        .value_kind:     hidden_global_offset_z
      - .offset:         208
        .size:           2
        .value_kind:     hidden_grid_dims
    .group_segment_fixed_size: 2048
    .kernarg_segment_align: 8
    .kernarg_segment_size: 400
    .language:       OpenCL C
    .language_version:
      - 2
      - 0
    .max_flat_workgroup_size: 64
    .name:           _ZN9rocsparseL29bsrmmnt_small_blockdim_kernelILj64ELj32ELj2Ell21rocsparse_complex_numIfES2_S2_S2_EEv20rocsparse_direction_T3_S4_llNS_24const_host_device_scalarIT7_EEPKT2_PKS4_PKT4_PKT5_llS7_PT6_ll16rocsparse_order_21rocsparse_index_base_b
    .private_segment_fixed_size: 0
    .sgpr_count:     36
    .sgpr_spill_count: 0
    .symbol:         _ZN9rocsparseL29bsrmmnt_small_blockdim_kernelILj64ELj32ELj2Ell21rocsparse_complex_numIfES2_S2_S2_EEv20rocsparse_direction_T3_S4_llNS_24const_host_device_scalarIT7_EEPKT2_PKS4_PKT4_PKT5_llS7_PT6_ll16rocsparse_order_21rocsparse_index_base_b.kd
    .uniform_work_group_size: 1
    .uses_dynamic_stack: false
    .vgpr_count:     45
    .vgpr_spill_count: 0
    .wavefront_size: 64
  - .args:
      - .offset:         0
        .size:           4
        .value_kind:     by_value
      - .offset:         8
        .size:           8
        .value_kind:     by_value
      - .offset:         16
        .size:           8
        .value_kind:     by_value
      - .offset:         24
        .size:           8
        .value_kind:     by_value
      - .offset:         32
        .size:           8
        .value_kind:     by_value
      - .offset:         40
        .size:           8
        .value_kind:     by_value
      - .actual_access:  read_only
        .address_space:  global
        .offset:         48
        .size:           8
        .value_kind:     global_buffer
      - .actual_access:  read_only
        .address_space:  global
        .offset:         56
        .size:           8
        .value_kind:     global_buffer
      - .actual_access:  read_only
        .address_space:  global
        .offset:         64
        .size:           8
        .value_kind:     global_buffer
      - .actual_access:  read_only
        .address_space:  global
        .offset:         72
        .size:           8
        .value_kind:     global_buffer
      - .offset:         80
        .size:           8
        .value_kind:     by_value
      - .offset:         88
        .size:           8
        .value_kind:     by_value
      - .offset:         96
        .size:           8
        .value_kind:     by_value
      - .address_space:  global
        .offset:         104
        .size:           8
        .value_kind:     global_buffer
      - .offset:         112
        .size:           8
        .value_kind:     by_value
      - .offset:         120
        .size:           8
        .value_kind:     by_value
      - .offset:         128
        .size:           4
        .value_kind:     by_value
      - .offset:         132
        .size:           4
        .value_kind:     by_value
      - .offset:         136
        .size:           1
        .value_kind:     by_value
      - .offset:         144
        .size:           4
        .value_kind:     hidden_block_count_x
      - .offset:         148
        .size:           4
        .value_kind:     hidden_block_count_y
      - .offset:         152
        .size:           4
        .value_kind:     hidden_block_count_z
      - .offset:         156
        .size:           2
        .value_kind:     hidden_group_size_x
      - .offset:         158
        .size:           2
        .value_kind:     hidden_group_size_y
      - .offset:         160
        .size:           2
        .value_kind:     hidden_group_size_z
      - .offset:         162
        .size:           2
        .value_kind:     hidden_remainder_x
      - .offset:         164
        .size:           2
        .value_kind:     hidden_remainder_y
      - .offset:         166
        .size:           2
        .value_kind:     hidden_remainder_z
      - .offset:         184
        .size:           8
        .value_kind:     hidden_global_offset_x
      - .offset:         192
        .size:           8
        .value_kind:     hidden_global_offset_y
      - .offset:         200
        .size:           8
        .value_kind:     hidden_global_offset_z
      - .offset:         208
        .size:           2
        .value_kind:     hidden_grid_dims
    .group_segment_fixed_size: 2048
    .kernarg_segment_align: 8
    .kernarg_segment_size: 400
    .language:       OpenCL C
    .language_version:
      - 2
      - 0
    .max_flat_workgroup_size: 64
    .name:           _ZN9rocsparseL29bsrmmnt_small_blockdim_kernelILj64ELj64ELj2Ell21rocsparse_complex_numIfES2_S2_S2_EEv20rocsparse_direction_T3_S4_llNS_24const_host_device_scalarIT7_EEPKT2_PKS4_PKT4_PKT5_llS7_PT6_ll16rocsparse_order_21rocsparse_index_base_b
    .private_segment_fixed_size: 0
    .sgpr_count:     36
    .sgpr_spill_count: 0
    .symbol:         _ZN9rocsparseL29bsrmmnt_small_blockdim_kernelILj64ELj64ELj2Ell21rocsparse_complex_numIfES2_S2_S2_EEv20rocsparse_direction_T3_S4_llNS_24const_host_device_scalarIT7_EEPKT2_PKS4_PKT4_PKT5_llS7_PT6_ll16rocsparse_order_21rocsparse_index_base_b.kd
    .uniform_work_group_size: 1
    .uses_dynamic_stack: false
    .vgpr_count:     44
    .vgpr_spill_count: 0
    .wavefront_size: 64
  - .args:
      - .offset:         0
        .size:           4
        .value_kind:     by_value
      - .offset:         4
        .size:           4
        .value_kind:     by_value
      - .offset:         8
        .size:           4
        .value_kind:     by_value
      - .offset:         16
        .size:           8
        .value_kind:     by_value
      - .offset:         24
        .size:           8
        .value_kind:     by_value
      - .offset:         32
        .size:           16
        .value_kind:     by_value
      - .actual_access:  read_only
        .address_space:  global
        .offset:         48
        .size:           8
        .value_kind:     global_buffer
      - .actual_access:  read_only
        .address_space:  global
        .offset:         56
        .size:           8
        .value_kind:     global_buffer
      - .actual_access:  read_only
        .address_space:  global
        .offset:         64
        .size:           8
        .value_kind:     global_buffer
      - .actual_access:  read_only
        .address_space:  global
        .offset:         72
        .size:           8
        .value_kind:     global_buffer
      - .offset:         80
        .size:           8
        .value_kind:     by_value
      - .offset:         88
        .size:           8
        .value_kind:     by_value
      - .offset:         96
        .size:           16
        .value_kind:     by_value
      - .address_space:  global
        .offset:         112
        .size:           8
        .value_kind:     global_buffer
      - .offset:         120
        .size:           8
        .value_kind:     by_value
      - .offset:         128
        .size:           8
        .value_kind:     by_value
      - .offset:         136
        .size:           4
        .value_kind:     by_value
      - .offset:         140
        .size:           4
        .value_kind:     by_value
      - .offset:         144
        .size:           1
        .value_kind:     by_value
      - .offset:         152
        .size:           4
        .value_kind:     hidden_block_count_x
      - .offset:         156
        .size:           4
        .value_kind:     hidden_block_count_y
      - .offset:         160
        .size:           4
        .value_kind:     hidden_block_count_z
      - .offset:         164
        .size:           2
        .value_kind:     hidden_group_size_x
      - .offset:         166
        .size:           2
        .value_kind:     hidden_group_size_y
      - .offset:         168
        .size:           2
        .value_kind:     hidden_group_size_z
      - .offset:         170
        .size:           2
        .value_kind:     hidden_remainder_x
      - .offset:         172
        .size:           2
        .value_kind:     hidden_remainder_y
      - .offset:         174
        .size:           2
        .value_kind:     hidden_remainder_z
      - .offset:         192
        .size:           8
        .value_kind:     hidden_global_offset_x
      - .offset:         200
        .size:           8
        .value_kind:     hidden_global_offset_y
      - .offset:         208
        .size:           8
        .value_kind:     hidden_global_offset_z
      - .offset:         216
        .size:           2
        .value_kind:     hidden_grid_dims
    .group_segment_fixed_size: 3328
    .kernarg_segment_align: 8
    .kernarg_segment_size: 408
    .language:       OpenCL C
    .language_version:
      - 2
      - 0
    .max_flat_workgroup_size: 64
    .name:           _ZN9rocsparseL29bsrmmnt_small_blockdim_kernelILj64ELj8ELj2Eii21rocsparse_complex_numIdES2_S2_S2_EEv20rocsparse_direction_T3_S4_llNS_24const_host_device_scalarIT7_EEPKT2_PKS4_PKT4_PKT5_llS7_PT6_ll16rocsparse_order_21rocsparse_index_base_b
    .private_segment_fixed_size: 0
    .sgpr_count:     32
    .sgpr_spill_count: 0
    .symbol:         _ZN9rocsparseL29bsrmmnt_small_blockdim_kernelILj64ELj8ELj2Eii21rocsparse_complex_numIdES2_S2_S2_EEv20rocsparse_direction_T3_S4_llNS_24const_host_device_scalarIT7_EEPKT2_PKS4_PKT4_PKT5_llS7_PT6_ll16rocsparse_order_21rocsparse_index_base_b.kd
    .uniform_work_group_size: 1
    .uses_dynamic_stack: false
    .vgpr_count:     61
    .vgpr_spill_count: 0
    .wavefront_size: 64
  - .args:
      - .offset:         0
        .size:           4
        .value_kind:     by_value
      - .offset:         4
        .size:           4
        .value_kind:     by_value
      - .offset:         8
        .size:           4
        .value_kind:     by_value
      - .offset:         16
        .size:           8
        .value_kind:     by_value
      - .offset:         24
        .size:           8
        .value_kind:     by_value
      - .offset:         32
        .size:           16
        .value_kind:     by_value
      - .actual_access:  read_only
        .address_space:  global
        .offset:         48
        .size:           8
        .value_kind:     global_buffer
      - .actual_access:  read_only
        .address_space:  global
        .offset:         56
        .size:           8
        .value_kind:     global_buffer
      - .actual_access:  read_only
        .address_space:  global
        .offset:         64
        .size:           8
        .value_kind:     global_buffer
      - .actual_access:  read_only
        .address_space:  global
        .offset:         72
        .size:           8
        .value_kind:     global_buffer
      - .offset:         80
        .size:           8
        .value_kind:     by_value
      - .offset:         88
        .size:           8
        .value_kind:     by_value
      - .offset:         96
        .size:           16
        .value_kind:     by_value
      - .address_space:  global
        .offset:         112
        .size:           8
        .value_kind:     global_buffer
      - .offset:         120
        .size:           8
        .value_kind:     by_value
      - .offset:         128
        .size:           8
        .value_kind:     by_value
      - .offset:         136
        .size:           4
        .value_kind:     by_value
      - .offset:         140
        .size:           4
        .value_kind:     by_value
      - .offset:         144
        .size:           1
        .value_kind:     by_value
      - .offset:         152
        .size:           4
        .value_kind:     hidden_block_count_x
      - .offset:         156
        .size:           4
        .value_kind:     hidden_block_count_y
      - .offset:         160
        .size:           4
        .value_kind:     hidden_block_count_z
      - .offset:         164
        .size:           2
        .value_kind:     hidden_group_size_x
      - .offset:         166
        .size:           2
        .value_kind:     hidden_group_size_y
      - .offset:         168
        .size:           2
        .value_kind:     hidden_group_size_z
      - .offset:         170
        .size:           2
        .value_kind:     hidden_remainder_x
      - .offset:         172
        .size:           2
        .value_kind:     hidden_remainder_y
      - .offset:         174
        .size:           2
        .value_kind:     hidden_remainder_z
      - .offset:         192
        .size:           8
        .value_kind:     hidden_global_offset_x
      - .offset:         200
        .size:           8
        .value_kind:     hidden_global_offset_y
      - .offset:         208
        .size:           8
        .value_kind:     hidden_global_offset_z
      - .offset:         216
        .size:           2
        .value_kind:     hidden_grid_dims
    .group_segment_fixed_size: 3328
    .kernarg_segment_align: 8
    .kernarg_segment_size: 408
    .language:       OpenCL C
    .language_version:
      - 2
      - 0
    .max_flat_workgroup_size: 64
    .name:           _ZN9rocsparseL29bsrmmnt_small_blockdim_kernelILj64ELj16ELj2Eii21rocsparse_complex_numIdES2_S2_S2_EEv20rocsparse_direction_T3_S4_llNS_24const_host_device_scalarIT7_EEPKT2_PKS4_PKT4_PKT5_llS7_PT6_ll16rocsparse_order_21rocsparse_index_base_b
    .private_segment_fixed_size: 0
    .sgpr_count:     32
    .sgpr_spill_count: 0
    .symbol:         _ZN9rocsparseL29bsrmmnt_small_blockdim_kernelILj64ELj16ELj2Eii21rocsparse_complex_numIdES2_S2_S2_EEv20rocsparse_direction_T3_S4_llNS_24const_host_device_scalarIT7_EEPKT2_PKS4_PKT4_PKT5_llS7_PT6_ll16rocsparse_order_21rocsparse_index_base_b.kd
    .uniform_work_group_size: 1
    .uses_dynamic_stack: false
    .vgpr_count:     61
    .vgpr_spill_count: 0
    .wavefront_size: 64
  - .args:
      - .offset:         0
        .size:           4
        .value_kind:     by_value
      - .offset:         4
        .size:           4
        .value_kind:     by_value
      - .offset:         8
        .size:           4
        .value_kind:     by_value
      - .offset:         16
        .size:           8
        .value_kind:     by_value
      - .offset:         24
        .size:           8
        .value_kind:     by_value
      - .offset:         32
        .size:           16
        .value_kind:     by_value
      - .actual_access:  read_only
        .address_space:  global
        .offset:         48
        .size:           8
        .value_kind:     global_buffer
      - .actual_access:  read_only
        .address_space:  global
        .offset:         56
        .size:           8
        .value_kind:     global_buffer
      - .actual_access:  read_only
        .address_space:  global
        .offset:         64
        .size:           8
        .value_kind:     global_buffer
      - .actual_access:  read_only
        .address_space:  global
        .offset:         72
        .size:           8
        .value_kind:     global_buffer
      - .offset:         80
        .size:           8
        .value_kind:     by_value
      - .offset:         88
        .size:           8
        .value_kind:     by_value
      - .offset:         96
        .size:           16
        .value_kind:     by_value
      - .address_space:  global
        .offset:         112
        .size:           8
        .value_kind:     global_buffer
      - .offset:         120
        .size:           8
        .value_kind:     by_value
      - .offset:         128
        .size:           8
        .value_kind:     by_value
      - .offset:         136
        .size:           4
        .value_kind:     by_value
      - .offset:         140
        .size:           4
        .value_kind:     by_value
      - .offset:         144
        .size:           1
        .value_kind:     by_value
      - .offset:         152
        .size:           4
        .value_kind:     hidden_block_count_x
      - .offset:         156
        .size:           4
        .value_kind:     hidden_block_count_y
      - .offset:         160
        .size:           4
        .value_kind:     hidden_block_count_z
      - .offset:         164
        .size:           2
        .value_kind:     hidden_group_size_x
      - .offset:         166
        .size:           2
        .value_kind:     hidden_group_size_y
      - .offset:         168
        .size:           2
        .value_kind:     hidden_group_size_z
      - .offset:         170
        .size:           2
        .value_kind:     hidden_remainder_x
      - .offset:         172
        .size:           2
        .value_kind:     hidden_remainder_y
      - .offset:         174
        .size:           2
        .value_kind:     hidden_remainder_z
      - .offset:         192
        .size:           8
        .value_kind:     hidden_global_offset_x
      - .offset:         200
        .size:           8
        .value_kind:     hidden_global_offset_y
      - .offset:         208
        .size:           8
        .value_kind:     hidden_global_offset_z
      - .offset:         216
        .size:           2
        .value_kind:     hidden_grid_dims
    .group_segment_fixed_size: 3328
    .kernarg_segment_align: 8
    .kernarg_segment_size: 408
    .language:       OpenCL C
    .language_version:
      - 2
      - 0
    .max_flat_workgroup_size: 64
    .name:           _ZN9rocsparseL29bsrmmnt_small_blockdim_kernelILj64ELj32ELj2Eii21rocsparse_complex_numIdES2_S2_S2_EEv20rocsparse_direction_T3_S4_llNS_24const_host_device_scalarIT7_EEPKT2_PKS4_PKT4_PKT5_llS7_PT6_ll16rocsparse_order_21rocsparse_index_base_b
    .private_segment_fixed_size: 0
    .sgpr_count:     32
    .sgpr_spill_count: 0
    .symbol:         _ZN9rocsparseL29bsrmmnt_small_blockdim_kernelILj64ELj32ELj2Eii21rocsparse_complex_numIdES2_S2_S2_EEv20rocsparse_direction_T3_S4_llNS_24const_host_device_scalarIT7_EEPKT2_PKS4_PKT4_PKT5_llS7_PT6_ll16rocsparse_order_21rocsparse_index_base_b.kd
    .uniform_work_group_size: 1
    .uses_dynamic_stack: false
    .vgpr_count:     61
    .vgpr_spill_count: 0
    .wavefront_size: 64
  - .args:
      - .offset:         0
        .size:           4
        .value_kind:     by_value
      - .offset:         4
        .size:           4
        .value_kind:     by_value
      - .offset:         8
        .size:           4
        .value_kind:     by_value
      - .offset:         16
        .size:           8
        .value_kind:     by_value
      - .offset:         24
        .size:           8
        .value_kind:     by_value
      - .offset:         32
        .size:           16
        .value_kind:     by_value
      - .actual_access:  read_only
        .address_space:  global
        .offset:         48
        .size:           8
        .value_kind:     global_buffer
      - .actual_access:  read_only
        .address_space:  global
        .offset:         56
        .size:           8
        .value_kind:     global_buffer
      - .actual_access:  read_only
        .address_space:  global
        .offset:         64
        .size:           8
        .value_kind:     global_buffer
      - .actual_access:  read_only
        .address_space:  global
        .offset:         72
        .size:           8
        .value_kind:     global_buffer
      - .offset:         80
        .size:           8
        .value_kind:     by_value
      - .offset:         88
        .size:           8
        .value_kind:     by_value
      - .offset:         96
        .size:           16
        .value_kind:     by_value
      - .address_space:  global
        .offset:         112
        .size:           8
        .value_kind:     global_buffer
      - .offset:         120
        .size:           8
        .value_kind:     by_value
      - .offset:         128
        .size:           8
        .value_kind:     by_value
      - .offset:         136
        .size:           4
        .value_kind:     by_value
      - .offset:         140
        .size:           4
        .value_kind:     by_value
      - .offset:         144
        .size:           1
        .value_kind:     by_value
      - .offset:         152
        .size:           4
        .value_kind:     hidden_block_count_x
      - .offset:         156
        .size:           4
        .value_kind:     hidden_block_count_y
      - .offset:         160
        .size:           4
        .value_kind:     hidden_block_count_z
      - .offset:         164
        .size:           2
        .value_kind:     hidden_group_size_x
      - .offset:         166
        .size:           2
        .value_kind:     hidden_group_size_y
      - .offset:         168
        .size:           2
        .value_kind:     hidden_group_size_z
      - .offset:         170
        .size:           2
        .value_kind:     hidden_remainder_x
      - .offset:         172
        .size:           2
        .value_kind:     hidden_remainder_y
      - .offset:         174
        .size:           2
        .value_kind:     hidden_remainder_z
      - .offset:         192
        .size:           8
        .value_kind:     hidden_global_offset_x
      - .offset:         200
        .size:           8
        .value_kind:     hidden_global_offset_y
      - .offset:         208
        .size:           8
        .value_kind:     hidden_global_offset_z
      - .offset:         216
        .size:           2
        .value_kind:     hidden_grid_dims
    .group_segment_fixed_size: 3328
    .kernarg_segment_align: 8
    .kernarg_segment_size: 408
    .language:       OpenCL C
    .language_version:
      - 2
      - 0
    .max_flat_workgroup_size: 64
    .name:           _ZN9rocsparseL29bsrmmnt_small_blockdim_kernelILj64ELj64ELj2Eii21rocsparse_complex_numIdES2_S2_S2_EEv20rocsparse_direction_T3_S4_llNS_24const_host_device_scalarIT7_EEPKT2_PKS4_PKT4_PKT5_llS7_PT6_ll16rocsparse_order_21rocsparse_index_base_b
    .private_segment_fixed_size: 0
    .sgpr_count:     32
    .sgpr_spill_count: 0
    .symbol:         _ZN9rocsparseL29bsrmmnt_small_blockdim_kernelILj64ELj64ELj2Eii21rocsparse_complex_numIdES2_S2_S2_EEv20rocsparse_direction_T3_S4_llNS_24const_host_device_scalarIT7_EEPKT2_PKS4_PKT4_PKT5_llS7_PT6_ll16rocsparse_order_21rocsparse_index_base_b.kd
    .uniform_work_group_size: 1
    .uses_dynamic_stack: false
    .vgpr_count:     60
    .vgpr_spill_count: 0
    .wavefront_size: 64
  - .args:
      - .offset:         0
        .size:           4
        .value_kind:     by_value
      - .offset:         4
        .size:           4
        .value_kind:     by_value
      - .offset:         8
        .size:           4
        .value_kind:     by_value
      - .offset:         16
        .size:           8
        .value_kind:     by_value
      - .offset:         24
        .size:           8
        .value_kind:     by_value
      - .offset:         32
        .size:           16
        .value_kind:     by_value
      - .actual_access:  read_only
        .address_space:  global
        .offset:         48
        .size:           8
        .value_kind:     global_buffer
      - .actual_access:  read_only
        .address_space:  global
        .offset:         56
        .size:           8
        .value_kind:     global_buffer
      - .actual_access:  read_only
        .address_space:  global
        .offset:         64
        .size:           8
        .value_kind:     global_buffer
      - .actual_access:  read_only
        .address_space:  global
        .offset:         72
        .size:           8
        .value_kind:     global_buffer
      - .offset:         80
        .size:           8
        .value_kind:     by_value
      - .offset:         88
        .size:           8
        .value_kind:     by_value
      - .offset:         96
        .size:           16
        .value_kind:     by_value
      - .address_space:  global
        .offset:         112
        .size:           8
        .value_kind:     global_buffer
      - .offset:         120
        .size:           8
        .value_kind:     by_value
      - .offset:         128
        .size:           8
        .value_kind:     by_value
      - .offset:         136
        .size:           4
        .value_kind:     by_value
      - .offset:         140
        .size:           4
        .value_kind:     by_value
      - .offset:         144
        .size:           1
        .value_kind:     by_value
      - .offset:         152
        .size:           4
        .value_kind:     hidden_block_count_x
      - .offset:         156
        .size:           4
        .value_kind:     hidden_block_count_y
      - .offset:         160
        .size:           4
        .value_kind:     hidden_block_count_z
      - .offset:         164
        .size:           2
        .value_kind:     hidden_group_size_x
      - .offset:         166
        .size:           2
        .value_kind:     hidden_group_size_y
      - .offset:         168
        .size:           2
        .value_kind:     hidden_group_size_z
      - .offset:         170
        .size:           2
        .value_kind:     hidden_remainder_x
      - .offset:         172
        .size:           2
        .value_kind:     hidden_remainder_y
      - .offset:         174
        .size:           2
        .value_kind:     hidden_remainder_z
      - .offset:         192
        .size:           8
        .value_kind:     hidden_global_offset_x
      - .offset:         200
        .size:           8
        .value_kind:     hidden_global_offset_y
      - .offset:         208
        .size:           8
        .value_kind:     hidden_global_offset_z
      - .offset:         216
        .size:           2
        .value_kind:     hidden_grid_dims
    .group_segment_fixed_size: 3328
    .kernarg_segment_align: 8
    .kernarg_segment_size: 408
    .language:       OpenCL C
    .language_version:
      - 2
      - 0
    .max_flat_workgroup_size: 64
    .name:           _ZN9rocsparseL29bsrmmnt_small_blockdim_kernelILj64ELj8ELj2Eli21rocsparse_complex_numIdES2_S2_S2_EEv20rocsparse_direction_T3_S4_llNS_24const_host_device_scalarIT7_EEPKT2_PKS4_PKT4_PKT5_llS7_PT6_ll16rocsparse_order_21rocsparse_index_base_b
    .private_segment_fixed_size: 0
    .sgpr_count:     32
    .sgpr_spill_count: 0
    .symbol:         _ZN9rocsparseL29bsrmmnt_small_blockdim_kernelILj64ELj8ELj2Eli21rocsparse_complex_numIdES2_S2_S2_EEv20rocsparse_direction_T3_S4_llNS_24const_host_device_scalarIT7_EEPKT2_PKS4_PKT4_PKT5_llS7_PT6_ll16rocsparse_order_21rocsparse_index_base_b.kd
    .uniform_work_group_size: 1
    .uses_dynamic_stack: false
    .vgpr_count:     63
    .vgpr_spill_count: 0
    .wavefront_size: 64
  - .args:
      - .offset:         0
        .size:           4
        .value_kind:     by_value
      - .offset:         4
        .size:           4
        .value_kind:     by_value
      - .offset:         8
        .size:           4
        .value_kind:     by_value
      - .offset:         16
        .size:           8
        .value_kind:     by_value
      - .offset:         24
        .size:           8
        .value_kind:     by_value
      - .offset:         32
        .size:           16
        .value_kind:     by_value
      - .actual_access:  read_only
        .address_space:  global
        .offset:         48
        .size:           8
        .value_kind:     global_buffer
      - .actual_access:  read_only
        .address_space:  global
        .offset:         56
        .size:           8
        .value_kind:     global_buffer
      - .actual_access:  read_only
        .address_space:  global
        .offset:         64
        .size:           8
        .value_kind:     global_buffer
      - .actual_access:  read_only
        .address_space:  global
        .offset:         72
        .size:           8
        .value_kind:     global_buffer
      - .offset:         80
        .size:           8
        .value_kind:     by_value
      - .offset:         88
        .size:           8
        .value_kind:     by_value
      - .offset:         96
        .size:           16
        .value_kind:     by_value
      - .address_space:  global
        .offset:         112
        .size:           8
        .value_kind:     global_buffer
      - .offset:         120
        .size:           8
        .value_kind:     by_value
      - .offset:         128
        .size:           8
        .value_kind:     by_value
      - .offset:         136
        .size:           4
        .value_kind:     by_value
      - .offset:         140
        .size:           4
        .value_kind:     by_value
      - .offset:         144
        .size:           1
        .value_kind:     by_value
      - .offset:         152
        .size:           4
        .value_kind:     hidden_block_count_x
      - .offset:         156
        .size:           4
        .value_kind:     hidden_block_count_y
      - .offset:         160
        .size:           4
        .value_kind:     hidden_block_count_z
      - .offset:         164
        .size:           2
        .value_kind:     hidden_group_size_x
      - .offset:         166
        .size:           2
        .value_kind:     hidden_group_size_y
      - .offset:         168
        .size:           2
        .value_kind:     hidden_group_size_z
      - .offset:         170
        .size:           2
        .value_kind:     hidden_remainder_x
      - .offset:         172
        .size:           2
        .value_kind:     hidden_remainder_y
      - .offset:         174
        .size:           2
        .value_kind:     hidden_remainder_z
      - .offset:         192
        .size:           8
        .value_kind:     hidden_global_offset_x
      - .offset:         200
        .size:           8
        .value_kind:     hidden_global_offset_y
      - .offset:         208
        .size:           8
        .value_kind:     hidden_global_offset_z
      - .offset:         216
        .size:           2
        .value_kind:     hidden_grid_dims
    .group_segment_fixed_size: 3328
    .kernarg_segment_align: 8
    .kernarg_segment_size: 408
    .language:       OpenCL C
    .language_version:
      - 2
      - 0
    .max_flat_workgroup_size: 64
    .name:           _ZN9rocsparseL29bsrmmnt_small_blockdim_kernelILj64ELj16ELj2Eli21rocsparse_complex_numIdES2_S2_S2_EEv20rocsparse_direction_T3_S4_llNS_24const_host_device_scalarIT7_EEPKT2_PKS4_PKT4_PKT5_llS7_PT6_ll16rocsparse_order_21rocsparse_index_base_b
    .private_segment_fixed_size: 0
    .sgpr_count:     32
    .sgpr_spill_count: 0
    .symbol:         _ZN9rocsparseL29bsrmmnt_small_blockdim_kernelILj64ELj16ELj2Eli21rocsparse_complex_numIdES2_S2_S2_EEv20rocsparse_direction_T3_S4_llNS_24const_host_device_scalarIT7_EEPKT2_PKS4_PKT4_PKT5_llS7_PT6_ll16rocsparse_order_21rocsparse_index_base_b.kd
    .uniform_work_group_size: 1
    .uses_dynamic_stack: false
    .vgpr_count:     63
    .vgpr_spill_count: 0
    .wavefront_size: 64
  - .args:
      - .offset:         0
        .size:           4
        .value_kind:     by_value
      - .offset:         4
        .size:           4
        .value_kind:     by_value
      - .offset:         8
        .size:           4
        .value_kind:     by_value
      - .offset:         16
        .size:           8
        .value_kind:     by_value
      - .offset:         24
        .size:           8
        .value_kind:     by_value
      - .offset:         32
        .size:           16
        .value_kind:     by_value
      - .actual_access:  read_only
        .address_space:  global
        .offset:         48
        .size:           8
        .value_kind:     global_buffer
      - .actual_access:  read_only
        .address_space:  global
        .offset:         56
        .size:           8
        .value_kind:     global_buffer
      - .actual_access:  read_only
        .address_space:  global
        .offset:         64
        .size:           8
        .value_kind:     global_buffer
      - .actual_access:  read_only
        .address_space:  global
        .offset:         72
        .size:           8
        .value_kind:     global_buffer
      - .offset:         80
        .size:           8
        .value_kind:     by_value
      - .offset:         88
        .size:           8
        .value_kind:     by_value
      - .offset:         96
        .size:           16
        .value_kind:     by_value
      - .address_space:  global
        .offset:         112
        .size:           8
        .value_kind:     global_buffer
      - .offset:         120
        .size:           8
        .value_kind:     by_value
      - .offset:         128
        .size:           8
        .value_kind:     by_value
      - .offset:         136
        .size:           4
        .value_kind:     by_value
      - .offset:         140
        .size:           4
        .value_kind:     by_value
      - .offset:         144
        .size:           1
        .value_kind:     by_value
      - .offset:         152
        .size:           4
        .value_kind:     hidden_block_count_x
      - .offset:         156
        .size:           4
        .value_kind:     hidden_block_count_y
      - .offset:         160
        .size:           4
        .value_kind:     hidden_block_count_z
      - .offset:         164
        .size:           2
        .value_kind:     hidden_group_size_x
      - .offset:         166
        .size:           2
        .value_kind:     hidden_group_size_y
      - .offset:         168
        .size:           2
        .value_kind:     hidden_group_size_z
      - .offset:         170
        .size:           2
        .value_kind:     hidden_remainder_x
      - .offset:         172
        .size:           2
        .value_kind:     hidden_remainder_y
      - .offset:         174
        .size:           2
        .value_kind:     hidden_remainder_z
      - .offset:         192
        .size:           8
        .value_kind:     hidden_global_offset_x
      - .offset:         200
        .size:           8
        .value_kind:     hidden_global_offset_y
      - .offset:         208
        .size:           8
        .value_kind:     hidden_global_offset_z
      - .offset:         216
        .size:           2
        .value_kind:     hidden_grid_dims
    .group_segment_fixed_size: 3328
    .kernarg_segment_align: 8
    .kernarg_segment_size: 408
    .language:       OpenCL C
    .language_version:
      - 2
      - 0
    .max_flat_workgroup_size: 64
    .name:           _ZN9rocsparseL29bsrmmnt_small_blockdim_kernelILj64ELj32ELj2Eli21rocsparse_complex_numIdES2_S2_S2_EEv20rocsparse_direction_T3_S4_llNS_24const_host_device_scalarIT7_EEPKT2_PKS4_PKT4_PKT5_llS7_PT6_ll16rocsparse_order_21rocsparse_index_base_b
    .private_segment_fixed_size: 0
    .sgpr_count:     32
    .sgpr_spill_count: 0
    .symbol:         _ZN9rocsparseL29bsrmmnt_small_blockdim_kernelILj64ELj32ELj2Eli21rocsparse_complex_numIdES2_S2_S2_EEv20rocsparse_direction_T3_S4_llNS_24const_host_device_scalarIT7_EEPKT2_PKS4_PKT4_PKT5_llS7_PT6_ll16rocsparse_order_21rocsparse_index_base_b.kd
    .uniform_work_group_size: 1
    .uses_dynamic_stack: false
    .vgpr_count:     63
    .vgpr_spill_count: 0
    .wavefront_size: 64
  - .args:
      - .offset:         0
        .size:           4
        .value_kind:     by_value
      - .offset:         4
        .size:           4
        .value_kind:     by_value
      - .offset:         8
        .size:           4
        .value_kind:     by_value
      - .offset:         16
        .size:           8
        .value_kind:     by_value
      - .offset:         24
        .size:           8
        .value_kind:     by_value
      - .offset:         32
        .size:           16
        .value_kind:     by_value
      - .actual_access:  read_only
        .address_space:  global
        .offset:         48
        .size:           8
        .value_kind:     global_buffer
      - .actual_access:  read_only
        .address_space:  global
        .offset:         56
        .size:           8
        .value_kind:     global_buffer
      - .actual_access:  read_only
        .address_space:  global
        .offset:         64
        .size:           8
        .value_kind:     global_buffer
      - .actual_access:  read_only
        .address_space:  global
        .offset:         72
        .size:           8
        .value_kind:     global_buffer
      - .offset:         80
        .size:           8
        .value_kind:     by_value
      - .offset:         88
        .size:           8
        .value_kind:     by_value
      - .offset:         96
        .size:           16
        .value_kind:     by_value
      - .address_space:  global
        .offset:         112
        .size:           8
        .value_kind:     global_buffer
      - .offset:         120
        .size:           8
        .value_kind:     by_value
      - .offset:         128
        .size:           8
        .value_kind:     by_value
      - .offset:         136
        .size:           4
        .value_kind:     by_value
      - .offset:         140
        .size:           4
        .value_kind:     by_value
      - .offset:         144
        .size:           1
        .value_kind:     by_value
      - .offset:         152
        .size:           4
        .value_kind:     hidden_block_count_x
      - .offset:         156
        .size:           4
        .value_kind:     hidden_block_count_y
      - .offset:         160
        .size:           4
        .value_kind:     hidden_block_count_z
      - .offset:         164
        .size:           2
        .value_kind:     hidden_group_size_x
      - .offset:         166
        .size:           2
        .value_kind:     hidden_group_size_y
      - .offset:         168
        .size:           2
        .value_kind:     hidden_group_size_z
      - .offset:         170
        .size:           2
        .value_kind:     hidden_remainder_x
      - .offset:         172
        .size:           2
        .value_kind:     hidden_remainder_y
      - .offset:         174
        .size:           2
        .value_kind:     hidden_remainder_z
      - .offset:         192
        .size:           8
        .value_kind:     hidden_global_offset_x
      - .offset:         200
        .size:           8
        .value_kind:     hidden_global_offset_y
      - .offset:         208
        .size:           8
        .value_kind:     hidden_global_offset_z
      - .offset:         216
        .size:           2
        .value_kind:     hidden_grid_dims
    .group_segment_fixed_size: 3328
    .kernarg_segment_align: 8
    .kernarg_segment_size: 408
    .language:       OpenCL C
    .language_version:
      - 2
      - 0
    .max_flat_workgroup_size: 64
    .name:           _ZN9rocsparseL29bsrmmnt_small_blockdim_kernelILj64ELj64ELj2Eli21rocsparse_complex_numIdES2_S2_S2_EEv20rocsparse_direction_T3_S4_llNS_24const_host_device_scalarIT7_EEPKT2_PKS4_PKT4_PKT5_llS7_PT6_ll16rocsparse_order_21rocsparse_index_base_b
    .private_segment_fixed_size: 0
    .sgpr_count:     32
    .sgpr_spill_count: 0
    .symbol:         _ZN9rocsparseL29bsrmmnt_small_blockdim_kernelILj64ELj64ELj2Eli21rocsparse_complex_numIdES2_S2_S2_EEv20rocsparse_direction_T3_S4_llNS_24const_host_device_scalarIT7_EEPKT2_PKS4_PKT4_PKT5_llS7_PT6_ll16rocsparse_order_21rocsparse_index_base_b.kd
    .uniform_work_group_size: 1
    .uses_dynamic_stack: false
    .vgpr_count:     62
    .vgpr_spill_count: 0
    .wavefront_size: 64
  - .args:
      - .offset:         0
        .size:           4
        .value_kind:     by_value
      - .offset:         8
        .size:           8
        .value_kind:     by_value
      - .offset:         16
        .size:           8
        .value_kind:     by_value
      - .offset:         24
        .size:           8
        .value_kind:     by_value
      - .offset:         32
        .size:           8
        .value_kind:     by_value
      - .offset:         40
        .size:           16
        .value_kind:     by_value
      - .actual_access:  read_only
        .address_space:  global
        .offset:         56
        .size:           8
        .value_kind:     global_buffer
      - .actual_access:  read_only
        .address_space:  global
        .offset:         64
        .size:           8
        .value_kind:     global_buffer
      - .actual_access:  read_only
        .address_space:  global
        .offset:         72
        .size:           8
        .value_kind:     global_buffer
      - .actual_access:  read_only
        .address_space:  global
        .offset:         80
        .size:           8
        .value_kind:     global_buffer
      - .offset:         88
        .size:           8
        .value_kind:     by_value
      - .offset:         96
        .size:           8
        .value_kind:     by_value
      - .offset:         104
        .size:           16
        .value_kind:     by_value
      - .address_space:  global
        .offset:         120
        .size:           8
        .value_kind:     global_buffer
      - .offset:         128
        .size:           8
        .value_kind:     by_value
      - .offset:         136
        .size:           8
        .value_kind:     by_value
      - .offset:         144
        .size:           4
        .value_kind:     by_value
      - .offset:         148
        .size:           4
        .value_kind:     by_value
      - .offset:         152
        .size:           1
        .value_kind:     by_value
      - .offset:         160
        .size:           4
        .value_kind:     hidden_block_count_x
      - .offset:         164
        .size:           4
        .value_kind:     hidden_block_count_y
      - .offset:         168
        .size:           4
        .value_kind:     hidden_block_count_z
      - .offset:         172
        .size:           2
        .value_kind:     hidden_group_size_x
      - .offset:         174
        .size:           2
        .value_kind:     hidden_group_size_y
      - .offset:         176
        .size:           2
        .value_kind:     hidden_group_size_z
      - .offset:         178
        .size:           2
        .value_kind:     hidden_remainder_x
      - .offset:         180
        .size:           2
        .value_kind:     hidden_remainder_y
      - .offset:         182
        .size:           2
        .value_kind:     hidden_remainder_z
      - .offset:         200
        .size:           8
        .value_kind:     hidden_global_offset_x
      - .offset:         208
        .size:           8
        .value_kind:     hidden_global_offset_y
      - .offset:         216
        .size:           8
        .value_kind:     hidden_global_offset_z
      - .offset:         224
        .size:           2
        .value_kind:     hidden_grid_dims
    .group_segment_fixed_size: 3584
    .kernarg_segment_align: 8
    .kernarg_segment_size: 416
    .language:       OpenCL C
    .language_version:
      - 2
      - 0
    .max_flat_workgroup_size: 64
    .name:           _ZN9rocsparseL29bsrmmnt_small_blockdim_kernelILj64ELj8ELj2Ell21rocsparse_complex_numIdES2_S2_S2_EEv20rocsparse_direction_T3_S4_llNS_24const_host_device_scalarIT7_EEPKT2_PKS4_PKT4_PKT5_llS7_PT6_ll16rocsparse_order_21rocsparse_index_base_b
    .private_segment_fixed_size: 0
    .sgpr_count:     36
    .sgpr_spill_count: 0
    .symbol:         _ZN9rocsparseL29bsrmmnt_small_blockdim_kernelILj64ELj8ELj2Ell21rocsparse_complex_numIdES2_S2_S2_EEv20rocsparse_direction_T3_S4_llNS_24const_host_device_scalarIT7_EEPKT2_PKS4_PKT4_PKT5_llS7_PT6_ll16rocsparse_order_21rocsparse_index_base_b.kd
    .uniform_work_group_size: 1
    .uses_dynamic_stack: false
    .vgpr_count:     61
    .vgpr_spill_count: 0
    .wavefront_size: 64
  - .args:
      - .offset:         0
        .size:           4
        .value_kind:     by_value
      - .offset:         8
        .size:           8
        .value_kind:     by_value
      - .offset:         16
        .size:           8
        .value_kind:     by_value
      - .offset:         24
        .size:           8
        .value_kind:     by_value
      - .offset:         32
        .size:           8
        .value_kind:     by_value
      - .offset:         40
        .size:           16
        .value_kind:     by_value
      - .actual_access:  read_only
        .address_space:  global
        .offset:         56
        .size:           8
        .value_kind:     global_buffer
      - .actual_access:  read_only
        .address_space:  global
        .offset:         64
        .size:           8
        .value_kind:     global_buffer
      - .actual_access:  read_only
        .address_space:  global
        .offset:         72
        .size:           8
        .value_kind:     global_buffer
      - .actual_access:  read_only
        .address_space:  global
        .offset:         80
        .size:           8
        .value_kind:     global_buffer
      - .offset:         88
        .size:           8
        .value_kind:     by_value
      - .offset:         96
        .size:           8
        .value_kind:     by_value
      - .offset:         104
        .size:           16
        .value_kind:     by_value
      - .address_space:  global
        .offset:         120
        .size:           8
        .value_kind:     global_buffer
      - .offset:         128
        .size:           8
        .value_kind:     by_value
      - .offset:         136
        .size:           8
        .value_kind:     by_value
      - .offset:         144
        .size:           4
        .value_kind:     by_value
      - .offset:         148
        .size:           4
        .value_kind:     by_value
      - .offset:         152
        .size:           1
        .value_kind:     by_value
      - .offset:         160
        .size:           4
        .value_kind:     hidden_block_count_x
      - .offset:         164
        .size:           4
        .value_kind:     hidden_block_count_y
      - .offset:         168
        .size:           4
        .value_kind:     hidden_block_count_z
      - .offset:         172
        .size:           2
        .value_kind:     hidden_group_size_x
      - .offset:         174
        .size:           2
        .value_kind:     hidden_group_size_y
      - .offset:         176
        .size:           2
        .value_kind:     hidden_group_size_z
      - .offset:         178
        .size:           2
        .value_kind:     hidden_remainder_x
      - .offset:         180
        .size:           2
        .value_kind:     hidden_remainder_y
      - .offset:         182
        .size:           2
        .value_kind:     hidden_remainder_z
      - .offset:         200
        .size:           8
        .value_kind:     hidden_global_offset_x
      - .offset:         208
        .size:           8
        .value_kind:     hidden_global_offset_y
      - .offset:         216
        .size:           8
        .value_kind:     hidden_global_offset_z
      - .offset:         224
        .size:           2
        .value_kind:     hidden_grid_dims
    .group_segment_fixed_size: 3584
    .kernarg_segment_align: 8
    .kernarg_segment_size: 416
    .language:       OpenCL C
    .language_version:
      - 2
      - 0
    .max_flat_workgroup_size: 64
    .name:           _ZN9rocsparseL29bsrmmnt_small_blockdim_kernelILj64ELj16ELj2Ell21rocsparse_complex_numIdES2_S2_S2_EEv20rocsparse_direction_T3_S4_llNS_24const_host_device_scalarIT7_EEPKT2_PKS4_PKT4_PKT5_llS7_PT6_ll16rocsparse_order_21rocsparse_index_base_b
    .private_segment_fixed_size: 0
    .sgpr_count:     36
    .sgpr_spill_count: 0
    .symbol:         _ZN9rocsparseL29bsrmmnt_small_blockdim_kernelILj64ELj16ELj2Ell21rocsparse_complex_numIdES2_S2_S2_EEv20rocsparse_direction_T3_S4_llNS_24const_host_device_scalarIT7_EEPKT2_PKS4_PKT4_PKT5_llS7_PT6_ll16rocsparse_order_21rocsparse_index_base_b.kd
    .uniform_work_group_size: 1
    .uses_dynamic_stack: false
    .vgpr_count:     61
    .vgpr_spill_count: 0
    .wavefront_size: 64
  - .args:
      - .offset:         0
        .size:           4
        .value_kind:     by_value
      - .offset:         8
        .size:           8
        .value_kind:     by_value
      - .offset:         16
        .size:           8
        .value_kind:     by_value
      - .offset:         24
        .size:           8
        .value_kind:     by_value
      - .offset:         32
        .size:           8
        .value_kind:     by_value
      - .offset:         40
        .size:           16
        .value_kind:     by_value
      - .actual_access:  read_only
        .address_space:  global
        .offset:         56
        .size:           8
        .value_kind:     global_buffer
      - .actual_access:  read_only
        .address_space:  global
        .offset:         64
        .size:           8
        .value_kind:     global_buffer
      - .actual_access:  read_only
        .address_space:  global
        .offset:         72
        .size:           8
        .value_kind:     global_buffer
      - .actual_access:  read_only
        .address_space:  global
        .offset:         80
        .size:           8
        .value_kind:     global_buffer
      - .offset:         88
        .size:           8
        .value_kind:     by_value
      - .offset:         96
        .size:           8
        .value_kind:     by_value
      - .offset:         104
        .size:           16
        .value_kind:     by_value
      - .address_space:  global
        .offset:         120
        .size:           8
        .value_kind:     global_buffer
      - .offset:         128
        .size:           8
        .value_kind:     by_value
      - .offset:         136
        .size:           8
        .value_kind:     by_value
      - .offset:         144
        .size:           4
        .value_kind:     by_value
      - .offset:         148
        .size:           4
        .value_kind:     by_value
      - .offset:         152
        .size:           1
        .value_kind:     by_value
      - .offset:         160
        .size:           4
        .value_kind:     hidden_block_count_x
      - .offset:         164
        .size:           4
        .value_kind:     hidden_block_count_y
      - .offset:         168
        .size:           4
        .value_kind:     hidden_block_count_z
      - .offset:         172
        .size:           2
        .value_kind:     hidden_group_size_x
      - .offset:         174
        .size:           2
        .value_kind:     hidden_group_size_y
      - .offset:         176
        .size:           2
        .value_kind:     hidden_group_size_z
      - .offset:         178
        .size:           2
        .value_kind:     hidden_remainder_x
      - .offset:         180
        .size:           2
        .value_kind:     hidden_remainder_y
      - .offset:         182
        .size:           2
        .value_kind:     hidden_remainder_z
      - .offset:         200
        .size:           8
        .value_kind:     hidden_global_offset_x
      - .offset:         208
        .size:           8
        .value_kind:     hidden_global_offset_y
      - .offset:         216
        .size:           8
        .value_kind:     hidden_global_offset_z
      - .offset:         224
        .size:           2
        .value_kind:     hidden_grid_dims
    .group_segment_fixed_size: 3584
    .kernarg_segment_align: 8
    .kernarg_segment_size: 416
    .language:       OpenCL C
    .language_version:
      - 2
      - 0
    .max_flat_workgroup_size: 64
    .name:           _ZN9rocsparseL29bsrmmnt_small_blockdim_kernelILj64ELj32ELj2Ell21rocsparse_complex_numIdES2_S2_S2_EEv20rocsparse_direction_T3_S4_llNS_24const_host_device_scalarIT7_EEPKT2_PKS4_PKT4_PKT5_llS7_PT6_ll16rocsparse_order_21rocsparse_index_base_b
    .private_segment_fixed_size: 0
    .sgpr_count:     36
    .sgpr_spill_count: 0
    .symbol:         _ZN9rocsparseL29bsrmmnt_small_blockdim_kernelILj64ELj32ELj2Ell21rocsparse_complex_numIdES2_S2_S2_EEv20rocsparse_direction_T3_S4_llNS_24const_host_device_scalarIT7_EEPKT2_PKS4_PKT4_PKT5_llS7_PT6_ll16rocsparse_order_21rocsparse_index_base_b.kd
    .uniform_work_group_size: 1
    .uses_dynamic_stack: false
    .vgpr_count:     61
    .vgpr_spill_count: 0
    .wavefront_size: 64
  - .args:
      - .offset:         0
        .size:           4
        .value_kind:     by_value
      - .offset:         8
        .size:           8
        .value_kind:     by_value
      - .offset:         16
        .size:           8
        .value_kind:     by_value
      - .offset:         24
        .size:           8
        .value_kind:     by_value
      - .offset:         32
        .size:           8
        .value_kind:     by_value
      - .offset:         40
        .size:           16
        .value_kind:     by_value
      - .actual_access:  read_only
        .address_space:  global
        .offset:         56
        .size:           8
        .value_kind:     global_buffer
      - .actual_access:  read_only
        .address_space:  global
        .offset:         64
        .size:           8
        .value_kind:     global_buffer
      - .actual_access:  read_only
        .address_space:  global
        .offset:         72
        .size:           8
        .value_kind:     global_buffer
      - .actual_access:  read_only
        .address_space:  global
        .offset:         80
        .size:           8
        .value_kind:     global_buffer
      - .offset:         88
        .size:           8
        .value_kind:     by_value
      - .offset:         96
        .size:           8
        .value_kind:     by_value
      - .offset:         104
        .size:           16
        .value_kind:     by_value
      - .address_space:  global
        .offset:         120
        .size:           8
        .value_kind:     global_buffer
      - .offset:         128
        .size:           8
        .value_kind:     by_value
      - .offset:         136
        .size:           8
        .value_kind:     by_value
      - .offset:         144
        .size:           4
        .value_kind:     by_value
      - .offset:         148
        .size:           4
        .value_kind:     by_value
      - .offset:         152
        .size:           1
        .value_kind:     by_value
      - .offset:         160
        .size:           4
        .value_kind:     hidden_block_count_x
      - .offset:         164
        .size:           4
        .value_kind:     hidden_block_count_y
      - .offset:         168
        .size:           4
        .value_kind:     hidden_block_count_z
      - .offset:         172
        .size:           2
        .value_kind:     hidden_group_size_x
      - .offset:         174
        .size:           2
        .value_kind:     hidden_group_size_y
      - .offset:         176
        .size:           2
        .value_kind:     hidden_group_size_z
      - .offset:         178
        .size:           2
        .value_kind:     hidden_remainder_x
      - .offset:         180
        .size:           2
        .value_kind:     hidden_remainder_y
      - .offset:         182
        .size:           2
        .value_kind:     hidden_remainder_z
      - .offset:         200
        .size:           8
        .value_kind:     hidden_global_offset_x
      - .offset:         208
        .size:           8
        .value_kind:     hidden_global_offset_y
      - .offset:         216
        .size:           8
        .value_kind:     hidden_global_offset_z
      - .offset:         224
        .size:           2
        .value_kind:     hidden_grid_dims
    .group_segment_fixed_size: 3584
    .kernarg_segment_align: 8
    .kernarg_segment_size: 416
    .language:       OpenCL C
    .language_version:
      - 2
      - 0
    .max_flat_workgroup_size: 64
    .name:           _ZN9rocsparseL29bsrmmnt_small_blockdim_kernelILj64ELj64ELj2Ell21rocsparse_complex_numIdES2_S2_S2_EEv20rocsparse_direction_T3_S4_llNS_24const_host_device_scalarIT7_EEPKT2_PKS4_PKT4_PKT5_llS7_PT6_ll16rocsparse_order_21rocsparse_index_base_b
    .private_segment_fixed_size: 0
    .sgpr_count:     36
    .sgpr_spill_count: 0
    .symbol:         _ZN9rocsparseL29bsrmmnt_small_blockdim_kernelILj64ELj64ELj2Ell21rocsparse_complex_numIdES2_S2_S2_EEv20rocsparse_direction_T3_S4_llNS_24const_host_device_scalarIT7_EEPKT2_PKS4_PKT4_PKT5_llS7_PT6_ll16rocsparse_order_21rocsparse_index_base_b.kd
    .uniform_work_group_size: 1
    .uses_dynamic_stack: false
    .vgpr_count:     60
    .vgpr_spill_count: 0
    .wavefront_size: 64
  - .args:
      - .offset:         0
        .size:           4
        .value_kind:     by_value
      - .offset:         4
        .size:           4
        .value_kind:     by_value
      - .offset:         8
        .size:           4
        .value_kind:     by_value
      - .offset:         16
        .size:           8
        .value_kind:     by_value
      - .offset:         24
        .size:           8
        .value_kind:     by_value
      - .offset:         32
        .size:           8
        .value_kind:     by_value
      - .actual_access:  read_only
        .address_space:  global
        .offset:         40
        .size:           8
        .value_kind:     global_buffer
      - .actual_access:  read_only
        .address_space:  global
        .offset:         48
        .size:           8
        .value_kind:     global_buffer
      - .actual_access:  read_only
        .address_space:  global
        .offset:         56
        .size:           8
        .value_kind:     global_buffer
      - .actual_access:  read_only
        .address_space:  global
        .offset:         64
        .size:           8
        .value_kind:     global_buffer
      - .offset:         72
        .size:           8
        .value_kind:     by_value
      - .offset:         80
        .size:           8
        .value_kind:     by_value
      - .offset:         88
        .size:           8
        .value_kind:     by_value
      - .address_space:  global
        .offset:         96
        .size:           8
        .value_kind:     global_buffer
      - .offset:         104
        .size:           8
        .value_kind:     by_value
      - .offset:         112
        .size:           8
        .value_kind:     by_value
      - .offset:         120
        .size:           4
        .value_kind:     by_value
      - .offset:         124
        .size:           4
        .value_kind:     by_value
      - .offset:         128
        .size:           1
        .value_kind:     by_value
      - .offset:         136
        .size:           4
        .value_kind:     hidden_block_count_x
      - .offset:         140
        .size:           4
        .value_kind:     hidden_block_count_y
      - .offset:         144
        .size:           4
        .value_kind:     hidden_block_count_z
      - .offset:         148
        .size:           2
        .value_kind:     hidden_group_size_x
      - .offset:         150
        .size:           2
        .value_kind:     hidden_group_size_y
      - .offset:         152
        .size:           2
        .value_kind:     hidden_group_size_z
      - .offset:         154
        .size:           2
        .value_kind:     hidden_remainder_x
      - .offset:         156
        .size:           2
        .value_kind:     hidden_remainder_y
      - .offset:         158
        .size:           2
        .value_kind:     hidden_remainder_z
      - .offset:         176
        .size:           8
        .value_kind:     hidden_global_offset_x
      - .offset:         184
        .size:           8
        .value_kind:     hidden_global_offset_y
      - .offset:         192
        .size:           8
        .value_kind:     hidden_global_offset_z
      - .offset:         200
        .size:           2
        .value_kind:     hidden_grid_dims
    .group_segment_fixed_size: 640
    .kernarg_segment_align: 8
    .kernarg_segment_size: 392
    .language:       OpenCL C
    .language_version:
      - 2
      - 0
    .max_flat_workgroup_size: 64
    .name:           _ZN9rocsparseL29bsrmmnt_small_blockdim_kernelILj64ELj8ELj2EiiDF16_DF16_ffEEv20rocsparse_direction_T3_S2_llNS_24const_host_device_scalarIT7_EEPKT2_PKS2_PKT4_PKT5_llS5_PT6_ll16rocsparse_order_21rocsparse_index_base_b
    .private_segment_fixed_size: 0
    .sgpr_count:     36
    .sgpr_spill_count: 0
    .symbol:         _ZN9rocsparseL29bsrmmnt_small_blockdim_kernelILj64ELj8ELj2EiiDF16_DF16_ffEEv20rocsparse_direction_T3_S2_llNS_24const_host_device_scalarIT7_EEPKT2_PKS2_PKT4_PKT5_llS5_PT6_ll16rocsparse_order_21rocsparse_index_base_b.kd
    .uniform_work_group_size: 1
    .uses_dynamic_stack: false
    .vgpr_count:     30
    .vgpr_spill_count: 0
    .wavefront_size: 64
  - .args:
      - .offset:         0
        .size:           4
        .value_kind:     by_value
      - .offset:         4
        .size:           4
        .value_kind:     by_value
      - .offset:         8
        .size:           4
        .value_kind:     by_value
      - .offset:         16
        .size:           8
        .value_kind:     by_value
      - .offset:         24
        .size:           8
        .value_kind:     by_value
      - .offset:         32
        .size:           8
        .value_kind:     by_value
      - .actual_access:  read_only
        .address_space:  global
        .offset:         40
        .size:           8
        .value_kind:     global_buffer
      - .actual_access:  read_only
        .address_space:  global
        .offset:         48
        .size:           8
        .value_kind:     global_buffer
      - .actual_access:  read_only
        .address_space:  global
        .offset:         56
        .size:           8
        .value_kind:     global_buffer
      - .actual_access:  read_only
        .address_space:  global
        .offset:         64
        .size:           8
        .value_kind:     global_buffer
      - .offset:         72
        .size:           8
        .value_kind:     by_value
      - .offset:         80
        .size:           8
        .value_kind:     by_value
      - .offset:         88
        .size:           8
        .value_kind:     by_value
      - .address_space:  global
        .offset:         96
        .size:           8
        .value_kind:     global_buffer
      - .offset:         104
        .size:           8
        .value_kind:     by_value
      - .offset:         112
        .size:           8
        .value_kind:     by_value
      - .offset:         120
        .size:           4
        .value_kind:     by_value
      - .offset:         124
        .size:           4
        .value_kind:     by_value
      - .offset:         128
        .size:           1
        .value_kind:     by_value
      - .offset:         136
        .size:           4
        .value_kind:     hidden_block_count_x
      - .offset:         140
        .size:           4
        .value_kind:     hidden_block_count_y
      - .offset:         144
        .size:           4
        .value_kind:     hidden_block_count_z
      - .offset:         148
        .size:           2
        .value_kind:     hidden_group_size_x
      - .offset:         150
        .size:           2
        .value_kind:     hidden_group_size_y
      - .offset:         152
        .size:           2
        .value_kind:     hidden_group_size_z
      - .offset:         154
        .size:           2
        .value_kind:     hidden_remainder_x
      - .offset:         156
        .size:           2
        .value_kind:     hidden_remainder_y
      - .offset:         158
        .size:           2
        .value_kind:     hidden_remainder_z
      - .offset:         176
        .size:           8
        .value_kind:     hidden_global_offset_x
      - .offset:         184
        .size:           8
        .value_kind:     hidden_global_offset_y
      - .offset:         192
        .size:           8
        .value_kind:     hidden_global_offset_z
      - .offset:         200
        .size:           2
        .value_kind:     hidden_grid_dims
    .group_segment_fixed_size: 640
    .kernarg_segment_align: 8
    .kernarg_segment_size: 392
    .language:       OpenCL C
    .language_version:
      - 2
      - 0
    .max_flat_workgroup_size: 64
    .name:           _ZN9rocsparseL29bsrmmnt_small_blockdim_kernelILj64ELj16ELj2EiiDF16_DF16_ffEEv20rocsparse_direction_T3_S2_llNS_24const_host_device_scalarIT7_EEPKT2_PKS2_PKT4_PKT5_llS5_PT6_ll16rocsparse_order_21rocsparse_index_base_b
    .private_segment_fixed_size: 0
    .sgpr_count:     36
    .sgpr_spill_count: 0
    .symbol:         _ZN9rocsparseL29bsrmmnt_small_blockdim_kernelILj64ELj16ELj2EiiDF16_DF16_ffEEv20rocsparse_direction_T3_S2_llNS_24const_host_device_scalarIT7_EEPKT2_PKS2_PKT4_PKT5_llS5_PT6_ll16rocsparse_order_21rocsparse_index_base_b.kd
    .uniform_work_group_size: 1
    .uses_dynamic_stack: false
    .vgpr_count:     30
    .vgpr_spill_count: 0
    .wavefront_size: 64
  - .args:
      - .offset:         0
        .size:           4
        .value_kind:     by_value
      - .offset:         4
        .size:           4
        .value_kind:     by_value
      - .offset:         8
        .size:           4
        .value_kind:     by_value
      - .offset:         16
        .size:           8
        .value_kind:     by_value
      - .offset:         24
        .size:           8
        .value_kind:     by_value
      - .offset:         32
        .size:           8
        .value_kind:     by_value
      - .actual_access:  read_only
        .address_space:  global
        .offset:         40
        .size:           8
        .value_kind:     global_buffer
      - .actual_access:  read_only
        .address_space:  global
        .offset:         48
        .size:           8
        .value_kind:     global_buffer
      - .actual_access:  read_only
        .address_space:  global
        .offset:         56
        .size:           8
        .value_kind:     global_buffer
      - .actual_access:  read_only
        .address_space:  global
        .offset:         64
        .size:           8
        .value_kind:     global_buffer
      - .offset:         72
        .size:           8
        .value_kind:     by_value
      - .offset:         80
        .size:           8
        .value_kind:     by_value
      - .offset:         88
        .size:           8
        .value_kind:     by_value
      - .address_space:  global
        .offset:         96
        .size:           8
        .value_kind:     global_buffer
      - .offset:         104
        .size:           8
        .value_kind:     by_value
      - .offset:         112
        .size:           8
        .value_kind:     by_value
      - .offset:         120
        .size:           4
        .value_kind:     by_value
      - .offset:         124
        .size:           4
        .value_kind:     by_value
      - .offset:         128
        .size:           1
        .value_kind:     by_value
      - .offset:         136
        .size:           4
        .value_kind:     hidden_block_count_x
      - .offset:         140
        .size:           4
        .value_kind:     hidden_block_count_y
      - .offset:         144
        .size:           4
        .value_kind:     hidden_block_count_z
      - .offset:         148
        .size:           2
        .value_kind:     hidden_group_size_x
      - .offset:         150
        .size:           2
        .value_kind:     hidden_group_size_y
      - .offset:         152
        .size:           2
        .value_kind:     hidden_group_size_z
      - .offset:         154
        .size:           2
        .value_kind:     hidden_remainder_x
      - .offset:         156
        .size:           2
        .value_kind:     hidden_remainder_y
      - .offset:         158
        .size:           2
        .value_kind:     hidden_remainder_z
      - .offset:         176
        .size:           8
        .value_kind:     hidden_global_offset_x
      - .offset:         184
        .size:           8
        .value_kind:     hidden_global_offset_y
      - .offset:         192
        .size:           8
        .value_kind:     hidden_global_offset_z
      - .offset:         200
        .size:           2
        .value_kind:     hidden_grid_dims
    .group_segment_fixed_size: 640
    .kernarg_segment_align: 8
    .kernarg_segment_size: 392
    .language:       OpenCL C
    .language_version:
      - 2
      - 0
    .max_flat_workgroup_size: 64
    .name:           _ZN9rocsparseL29bsrmmnt_small_blockdim_kernelILj64ELj32ELj2EiiDF16_DF16_ffEEv20rocsparse_direction_T3_S2_llNS_24const_host_device_scalarIT7_EEPKT2_PKS2_PKT4_PKT5_llS5_PT6_ll16rocsparse_order_21rocsparse_index_base_b
    .private_segment_fixed_size: 0
    .sgpr_count:     36
    .sgpr_spill_count: 0
    .symbol:         _ZN9rocsparseL29bsrmmnt_small_blockdim_kernelILj64ELj32ELj2EiiDF16_DF16_ffEEv20rocsparse_direction_T3_S2_llNS_24const_host_device_scalarIT7_EEPKT2_PKS2_PKT4_PKT5_llS5_PT6_ll16rocsparse_order_21rocsparse_index_base_b.kd
    .uniform_work_group_size: 1
    .uses_dynamic_stack: false
    .vgpr_count:     30
    .vgpr_spill_count: 0
    .wavefront_size: 64
  - .args:
      - .offset:         0
        .size:           4
        .value_kind:     by_value
      - .offset:         4
        .size:           4
        .value_kind:     by_value
      - .offset:         8
        .size:           4
        .value_kind:     by_value
      - .offset:         16
        .size:           8
        .value_kind:     by_value
      - .offset:         24
        .size:           8
        .value_kind:     by_value
      - .offset:         32
        .size:           8
        .value_kind:     by_value
      - .actual_access:  read_only
        .address_space:  global
        .offset:         40
        .size:           8
        .value_kind:     global_buffer
      - .actual_access:  read_only
        .address_space:  global
        .offset:         48
        .size:           8
        .value_kind:     global_buffer
      - .actual_access:  read_only
        .address_space:  global
        .offset:         56
        .size:           8
        .value_kind:     global_buffer
      - .actual_access:  read_only
        .address_space:  global
        .offset:         64
        .size:           8
        .value_kind:     global_buffer
      - .offset:         72
        .size:           8
        .value_kind:     by_value
      - .offset:         80
        .size:           8
        .value_kind:     by_value
      - .offset:         88
        .size:           8
        .value_kind:     by_value
      - .address_space:  global
        .offset:         96
        .size:           8
        .value_kind:     global_buffer
      - .offset:         104
        .size:           8
        .value_kind:     by_value
      - .offset:         112
        .size:           8
        .value_kind:     by_value
      - .offset:         120
        .size:           4
        .value_kind:     by_value
      - .offset:         124
        .size:           4
        .value_kind:     by_value
      - .offset:         128
        .size:           1
        .value_kind:     by_value
      - .offset:         136
        .size:           4
        .value_kind:     hidden_block_count_x
      - .offset:         140
        .size:           4
        .value_kind:     hidden_block_count_y
      - .offset:         144
        .size:           4
        .value_kind:     hidden_block_count_z
      - .offset:         148
        .size:           2
        .value_kind:     hidden_group_size_x
      - .offset:         150
        .size:           2
        .value_kind:     hidden_group_size_y
      - .offset:         152
        .size:           2
        .value_kind:     hidden_group_size_z
      - .offset:         154
        .size:           2
        .value_kind:     hidden_remainder_x
      - .offset:         156
        .size:           2
        .value_kind:     hidden_remainder_y
      - .offset:         158
        .size:           2
        .value_kind:     hidden_remainder_z
      - .offset:         176
        .size:           8
        .value_kind:     hidden_global_offset_x
      - .offset:         184
        .size:           8
        .value_kind:     hidden_global_offset_y
      - .offset:         192
        .size:           8
        .value_kind:     hidden_global_offset_z
      - .offset:         200
        .size:           2
        .value_kind:     hidden_grid_dims
    .group_segment_fixed_size: 640
    .kernarg_segment_align: 8
    .kernarg_segment_size: 392
    .language:       OpenCL C
    .language_version:
      - 2
      - 0
    .max_flat_workgroup_size: 64
    .name:           _ZN9rocsparseL29bsrmmnt_small_blockdim_kernelILj64ELj64ELj2EiiDF16_DF16_ffEEv20rocsparse_direction_T3_S2_llNS_24const_host_device_scalarIT7_EEPKT2_PKS2_PKT4_PKT5_llS5_PT6_ll16rocsparse_order_21rocsparse_index_base_b
    .private_segment_fixed_size: 0
    .sgpr_count:     36
    .sgpr_spill_count: 0
    .symbol:         _ZN9rocsparseL29bsrmmnt_small_blockdim_kernelILj64ELj64ELj2EiiDF16_DF16_ffEEv20rocsparse_direction_T3_S2_llNS_24const_host_device_scalarIT7_EEPKT2_PKS2_PKT4_PKT5_llS5_PT6_ll16rocsparse_order_21rocsparse_index_base_b.kd
    .uniform_work_group_size: 1
    .uses_dynamic_stack: false
    .vgpr_count:     28
    .vgpr_spill_count: 0
    .wavefront_size: 64
  - .args:
      - .offset:         0
        .size:           4
        .value_kind:     by_value
      - .offset:         4
        .size:           4
        .value_kind:     by_value
      - .offset:         8
        .size:           4
        .value_kind:     by_value
      - .offset:         16
        .size:           8
        .value_kind:     by_value
      - .offset:         24
        .size:           8
        .value_kind:     by_value
      - .offset:         32
        .size:           8
        .value_kind:     by_value
      - .actual_access:  read_only
        .address_space:  global
        .offset:         40
        .size:           8
        .value_kind:     global_buffer
      - .actual_access:  read_only
        .address_space:  global
        .offset:         48
        .size:           8
        .value_kind:     global_buffer
      - .actual_access:  read_only
        .address_space:  global
        .offset:         56
        .size:           8
        .value_kind:     global_buffer
      - .actual_access:  read_only
        .address_space:  global
        .offset:         64
        .size:           8
        .value_kind:     global_buffer
      - .offset:         72
        .size:           8
        .value_kind:     by_value
      - .offset:         80
        .size:           8
        .value_kind:     by_value
      - .offset:         88
        .size:           8
        .value_kind:     by_value
      - .address_space:  global
        .offset:         96
        .size:           8
        .value_kind:     global_buffer
      - .offset:         104
        .size:           8
        .value_kind:     by_value
      - .offset:         112
        .size:           8
        .value_kind:     by_value
      - .offset:         120
        .size:           4
        .value_kind:     by_value
      - .offset:         124
        .size:           4
        .value_kind:     by_value
      - .offset:         128
        .size:           1
        .value_kind:     by_value
      - .offset:         136
        .size:           4
        .value_kind:     hidden_block_count_x
      - .offset:         140
        .size:           4
        .value_kind:     hidden_block_count_y
      - .offset:         144
        .size:           4
        .value_kind:     hidden_block_count_z
      - .offset:         148
        .size:           2
        .value_kind:     hidden_group_size_x
      - .offset:         150
        .size:           2
        .value_kind:     hidden_group_size_y
      - .offset:         152
        .size:           2
        .value_kind:     hidden_group_size_z
      - .offset:         154
        .size:           2
        .value_kind:     hidden_remainder_x
      - .offset:         156
        .size:           2
        .value_kind:     hidden_remainder_y
      - .offset:         158
        .size:           2
        .value_kind:     hidden_remainder_z
      - .offset:         176
        .size:           8
        .value_kind:     hidden_global_offset_x
      - .offset:         184
        .size:           8
        .value_kind:     hidden_global_offset_y
      - .offset:         192
        .size:           8
        .value_kind:     hidden_global_offset_z
      - .offset:         200
        .size:           2
        .value_kind:     hidden_grid_dims
    .group_segment_fixed_size: 640
    .kernarg_segment_align: 8
    .kernarg_segment_size: 392
    .language:       OpenCL C
    .language_version:
      - 2
      - 0
    .max_flat_workgroup_size: 64
    .name:           _ZN9rocsparseL29bsrmmnt_small_blockdim_kernelILj64ELj8ELj2EliDF16_DF16_ffEEv20rocsparse_direction_T3_S2_llNS_24const_host_device_scalarIT7_EEPKT2_PKS2_PKT4_PKT5_llS5_PT6_ll16rocsparse_order_21rocsparse_index_base_b
    .private_segment_fixed_size: 0
    .sgpr_count:     36
    .sgpr_spill_count: 0
    .symbol:         _ZN9rocsparseL29bsrmmnt_small_blockdim_kernelILj64ELj8ELj2EliDF16_DF16_ffEEv20rocsparse_direction_T3_S2_llNS_24const_host_device_scalarIT7_EEPKT2_PKS2_PKT4_PKT5_llS5_PT6_ll16rocsparse_order_21rocsparse_index_base_b.kd
    .uniform_work_group_size: 1
    .uses_dynamic_stack: false
    .vgpr_count:     31
    .vgpr_spill_count: 0
    .wavefront_size: 64
  - .args:
      - .offset:         0
        .size:           4
        .value_kind:     by_value
      - .offset:         4
        .size:           4
        .value_kind:     by_value
      - .offset:         8
        .size:           4
        .value_kind:     by_value
      - .offset:         16
        .size:           8
        .value_kind:     by_value
      - .offset:         24
        .size:           8
        .value_kind:     by_value
      - .offset:         32
        .size:           8
        .value_kind:     by_value
      - .actual_access:  read_only
        .address_space:  global
        .offset:         40
        .size:           8
        .value_kind:     global_buffer
      - .actual_access:  read_only
        .address_space:  global
        .offset:         48
        .size:           8
        .value_kind:     global_buffer
      - .actual_access:  read_only
        .address_space:  global
        .offset:         56
        .size:           8
        .value_kind:     global_buffer
      - .actual_access:  read_only
        .address_space:  global
        .offset:         64
        .size:           8
        .value_kind:     global_buffer
      - .offset:         72
        .size:           8
        .value_kind:     by_value
      - .offset:         80
        .size:           8
        .value_kind:     by_value
      - .offset:         88
        .size:           8
        .value_kind:     by_value
      - .address_space:  global
        .offset:         96
        .size:           8
        .value_kind:     global_buffer
      - .offset:         104
        .size:           8
        .value_kind:     by_value
      - .offset:         112
        .size:           8
        .value_kind:     by_value
      - .offset:         120
        .size:           4
        .value_kind:     by_value
      - .offset:         124
        .size:           4
        .value_kind:     by_value
      - .offset:         128
        .size:           1
        .value_kind:     by_value
      - .offset:         136
        .size:           4
        .value_kind:     hidden_block_count_x
      - .offset:         140
        .size:           4
        .value_kind:     hidden_block_count_y
      - .offset:         144
        .size:           4
        .value_kind:     hidden_block_count_z
      - .offset:         148
        .size:           2
        .value_kind:     hidden_group_size_x
      - .offset:         150
        .size:           2
        .value_kind:     hidden_group_size_y
      - .offset:         152
        .size:           2
        .value_kind:     hidden_group_size_z
      - .offset:         154
        .size:           2
        .value_kind:     hidden_remainder_x
      - .offset:         156
        .size:           2
        .value_kind:     hidden_remainder_y
      - .offset:         158
        .size:           2
        .value_kind:     hidden_remainder_z
      - .offset:         176
        .size:           8
        .value_kind:     hidden_global_offset_x
      - .offset:         184
        .size:           8
        .value_kind:     hidden_global_offset_y
      - .offset:         192
        .size:           8
        .value_kind:     hidden_global_offset_z
      - .offset:         200
        .size:           2
        .value_kind:     hidden_grid_dims
    .group_segment_fixed_size: 640
    .kernarg_segment_align: 8
    .kernarg_segment_size: 392
    .language:       OpenCL C
    .language_version:
      - 2
      - 0
    .max_flat_workgroup_size: 64
    .name:           _ZN9rocsparseL29bsrmmnt_small_blockdim_kernelILj64ELj16ELj2EliDF16_DF16_ffEEv20rocsparse_direction_T3_S2_llNS_24const_host_device_scalarIT7_EEPKT2_PKS2_PKT4_PKT5_llS5_PT6_ll16rocsparse_order_21rocsparse_index_base_b
    .private_segment_fixed_size: 0
    .sgpr_count:     36
    .sgpr_spill_count: 0
    .symbol:         _ZN9rocsparseL29bsrmmnt_small_blockdim_kernelILj64ELj16ELj2EliDF16_DF16_ffEEv20rocsparse_direction_T3_S2_llNS_24const_host_device_scalarIT7_EEPKT2_PKS2_PKT4_PKT5_llS5_PT6_ll16rocsparse_order_21rocsparse_index_base_b.kd
    .uniform_work_group_size: 1
    .uses_dynamic_stack: false
    .vgpr_count:     31
    .vgpr_spill_count: 0
    .wavefront_size: 64
  - .args:
      - .offset:         0
        .size:           4
        .value_kind:     by_value
      - .offset:         4
        .size:           4
        .value_kind:     by_value
      - .offset:         8
        .size:           4
        .value_kind:     by_value
      - .offset:         16
        .size:           8
        .value_kind:     by_value
      - .offset:         24
        .size:           8
        .value_kind:     by_value
      - .offset:         32
        .size:           8
        .value_kind:     by_value
      - .actual_access:  read_only
        .address_space:  global
        .offset:         40
        .size:           8
        .value_kind:     global_buffer
      - .actual_access:  read_only
        .address_space:  global
        .offset:         48
        .size:           8
        .value_kind:     global_buffer
      - .actual_access:  read_only
        .address_space:  global
        .offset:         56
        .size:           8
        .value_kind:     global_buffer
      - .actual_access:  read_only
        .address_space:  global
        .offset:         64
        .size:           8
        .value_kind:     global_buffer
      - .offset:         72
        .size:           8
        .value_kind:     by_value
      - .offset:         80
        .size:           8
        .value_kind:     by_value
      - .offset:         88
        .size:           8
        .value_kind:     by_value
      - .address_space:  global
        .offset:         96
        .size:           8
        .value_kind:     global_buffer
      - .offset:         104
        .size:           8
        .value_kind:     by_value
      - .offset:         112
        .size:           8
        .value_kind:     by_value
      - .offset:         120
        .size:           4
        .value_kind:     by_value
      - .offset:         124
        .size:           4
        .value_kind:     by_value
      - .offset:         128
        .size:           1
        .value_kind:     by_value
      - .offset:         136
        .size:           4
        .value_kind:     hidden_block_count_x
      - .offset:         140
        .size:           4
        .value_kind:     hidden_block_count_y
      - .offset:         144
        .size:           4
        .value_kind:     hidden_block_count_z
      - .offset:         148
        .size:           2
        .value_kind:     hidden_group_size_x
      - .offset:         150
        .size:           2
        .value_kind:     hidden_group_size_y
      - .offset:         152
        .size:           2
        .value_kind:     hidden_group_size_z
      - .offset:         154
        .size:           2
        .value_kind:     hidden_remainder_x
      - .offset:         156
        .size:           2
        .value_kind:     hidden_remainder_y
      - .offset:         158
        .size:           2
        .value_kind:     hidden_remainder_z
      - .offset:         176
        .size:           8
        .value_kind:     hidden_global_offset_x
      - .offset:         184
        .size:           8
        .value_kind:     hidden_global_offset_y
      - .offset:         192
        .size:           8
        .value_kind:     hidden_global_offset_z
      - .offset:         200
        .size:           2
        .value_kind:     hidden_grid_dims
    .group_segment_fixed_size: 640
    .kernarg_segment_align: 8
    .kernarg_segment_size: 392
    .language:       OpenCL C
    .language_version:
      - 2
      - 0
    .max_flat_workgroup_size: 64
    .name:           _ZN9rocsparseL29bsrmmnt_small_blockdim_kernelILj64ELj32ELj2EliDF16_DF16_ffEEv20rocsparse_direction_T3_S2_llNS_24const_host_device_scalarIT7_EEPKT2_PKS2_PKT4_PKT5_llS5_PT6_ll16rocsparse_order_21rocsparse_index_base_b
    .private_segment_fixed_size: 0
    .sgpr_count:     36
    .sgpr_spill_count: 0
    .symbol:         _ZN9rocsparseL29bsrmmnt_small_blockdim_kernelILj64ELj32ELj2EliDF16_DF16_ffEEv20rocsparse_direction_T3_S2_llNS_24const_host_device_scalarIT7_EEPKT2_PKS2_PKT4_PKT5_llS5_PT6_ll16rocsparse_order_21rocsparse_index_base_b.kd
    .uniform_work_group_size: 1
    .uses_dynamic_stack: false
    .vgpr_count:     31
    .vgpr_spill_count: 0
    .wavefront_size: 64
  - .args:
      - .offset:         0
        .size:           4
        .value_kind:     by_value
      - .offset:         4
        .size:           4
        .value_kind:     by_value
      - .offset:         8
        .size:           4
        .value_kind:     by_value
      - .offset:         16
        .size:           8
        .value_kind:     by_value
      - .offset:         24
        .size:           8
        .value_kind:     by_value
      - .offset:         32
        .size:           8
        .value_kind:     by_value
      - .actual_access:  read_only
        .address_space:  global
        .offset:         40
        .size:           8
        .value_kind:     global_buffer
      - .actual_access:  read_only
        .address_space:  global
        .offset:         48
        .size:           8
        .value_kind:     global_buffer
      - .actual_access:  read_only
        .address_space:  global
        .offset:         56
        .size:           8
        .value_kind:     global_buffer
      - .actual_access:  read_only
        .address_space:  global
        .offset:         64
        .size:           8
        .value_kind:     global_buffer
      - .offset:         72
        .size:           8
        .value_kind:     by_value
      - .offset:         80
        .size:           8
        .value_kind:     by_value
      - .offset:         88
        .size:           8
        .value_kind:     by_value
      - .address_space:  global
        .offset:         96
        .size:           8
        .value_kind:     global_buffer
      - .offset:         104
        .size:           8
        .value_kind:     by_value
      - .offset:         112
        .size:           8
        .value_kind:     by_value
      - .offset:         120
        .size:           4
        .value_kind:     by_value
      - .offset:         124
        .size:           4
        .value_kind:     by_value
      - .offset:         128
        .size:           1
        .value_kind:     by_value
      - .offset:         136
        .size:           4
        .value_kind:     hidden_block_count_x
      - .offset:         140
        .size:           4
        .value_kind:     hidden_block_count_y
      - .offset:         144
        .size:           4
        .value_kind:     hidden_block_count_z
      - .offset:         148
        .size:           2
        .value_kind:     hidden_group_size_x
      - .offset:         150
        .size:           2
        .value_kind:     hidden_group_size_y
      - .offset:         152
        .size:           2
        .value_kind:     hidden_group_size_z
      - .offset:         154
        .size:           2
        .value_kind:     hidden_remainder_x
      - .offset:         156
        .size:           2
        .value_kind:     hidden_remainder_y
      - .offset:         158
        .size:           2
        .value_kind:     hidden_remainder_z
      - .offset:         176
        .size:           8
        .value_kind:     hidden_global_offset_x
      - .offset:         184
        .size:           8
        .value_kind:     hidden_global_offset_y
      - .offset:         192
        .size:           8
        .value_kind:     hidden_global_offset_z
      - .offset:         200
        .size:           2
        .value_kind:     hidden_grid_dims
    .group_segment_fixed_size: 640
    .kernarg_segment_align: 8
    .kernarg_segment_size: 392
    .language:       OpenCL C
    .language_version:
      - 2
      - 0
    .max_flat_workgroup_size: 64
    .name:           _ZN9rocsparseL29bsrmmnt_small_blockdim_kernelILj64ELj64ELj2EliDF16_DF16_ffEEv20rocsparse_direction_T3_S2_llNS_24const_host_device_scalarIT7_EEPKT2_PKS2_PKT4_PKT5_llS5_PT6_ll16rocsparse_order_21rocsparse_index_base_b
    .private_segment_fixed_size: 0
    .sgpr_count:     36
    .sgpr_spill_count: 0
    .symbol:         _ZN9rocsparseL29bsrmmnt_small_blockdim_kernelILj64ELj64ELj2EliDF16_DF16_ffEEv20rocsparse_direction_T3_S2_llNS_24const_host_device_scalarIT7_EEPKT2_PKS2_PKT4_PKT5_llS5_PT6_ll16rocsparse_order_21rocsparse_index_base_b.kd
    .uniform_work_group_size: 1
    .uses_dynamic_stack: false
    .vgpr_count:     30
    .vgpr_spill_count: 0
    .wavefront_size: 64
  - .args:
      - .offset:         0
        .size:           4
        .value_kind:     by_value
      - .offset:         8
        .size:           8
        .value_kind:     by_value
      - .offset:         16
        .size:           8
        .value_kind:     by_value
      - .offset:         24
        .size:           8
        .value_kind:     by_value
      - .offset:         32
        .size:           8
        .value_kind:     by_value
      - .offset:         40
        .size:           8
        .value_kind:     by_value
      - .actual_access:  read_only
        .address_space:  global
        .offset:         48
        .size:           8
        .value_kind:     global_buffer
      - .actual_access:  read_only
        .address_space:  global
        .offset:         56
        .size:           8
        .value_kind:     global_buffer
      - .actual_access:  read_only
        .address_space:  global
        .offset:         64
        .size:           8
        .value_kind:     global_buffer
      - .actual_access:  read_only
        .address_space:  global
        .offset:         72
        .size:           8
        .value_kind:     global_buffer
      - .offset:         80
        .size:           8
        .value_kind:     by_value
      - .offset:         88
        .size:           8
        .value_kind:     by_value
      - .offset:         96
        .size:           8
        .value_kind:     by_value
      - .address_space:  global
        .offset:         104
        .size:           8
        .value_kind:     global_buffer
      - .offset:         112
        .size:           8
        .value_kind:     by_value
      - .offset:         120
        .size:           8
        .value_kind:     by_value
      - .offset:         128
        .size:           4
        .value_kind:     by_value
      - .offset:         132
        .size:           4
        .value_kind:     by_value
      - .offset:         136
        .size:           1
        .value_kind:     by_value
      - .offset:         144
        .size:           4
        .value_kind:     hidden_block_count_x
      - .offset:         148
        .size:           4
        .value_kind:     hidden_block_count_y
      - .offset:         152
        .size:           4
        .value_kind:     hidden_block_count_z
      - .offset:         156
        .size:           2
        .value_kind:     hidden_group_size_x
      - .offset:         158
        .size:           2
        .value_kind:     hidden_group_size_y
      - .offset:         160
        .size:           2
        .value_kind:     hidden_group_size_z
      - .offset:         162
        .size:           2
        .value_kind:     hidden_remainder_x
      - .offset:         164
        .size:           2
        .value_kind:     hidden_remainder_y
      - .offset:         166
        .size:           2
        .value_kind:     hidden_remainder_z
      - .offset:         184
        .size:           8
        .value_kind:     hidden_global_offset_x
      - .offset:         192
        .size:           8
        .value_kind:     hidden_global_offset_y
      - .offset:         200
        .size:           8
        .value_kind:     hidden_global_offset_z
      - .offset:         208
        .size:           2
        .value_kind:     hidden_grid_dims
    .group_segment_fixed_size: 896
    .kernarg_segment_align: 8
    .kernarg_segment_size: 400
    .language:       OpenCL C
    .language_version:
      - 2
      - 0
    .max_flat_workgroup_size: 64
    .name:           _ZN9rocsparseL29bsrmmnt_small_blockdim_kernelILj64ELj8ELj2EllDF16_DF16_ffEEv20rocsparse_direction_T3_S2_llNS_24const_host_device_scalarIT7_EEPKT2_PKS2_PKT4_PKT5_llS5_PT6_ll16rocsparse_order_21rocsparse_index_base_b
    .private_segment_fixed_size: 0
    .sgpr_count:     40
    .sgpr_spill_count: 0
    .symbol:         _ZN9rocsparseL29bsrmmnt_small_blockdim_kernelILj64ELj8ELj2EllDF16_DF16_ffEEv20rocsparse_direction_T3_S2_llNS_24const_host_device_scalarIT7_EEPKT2_PKS2_PKT4_PKT5_llS5_PT6_ll16rocsparse_order_21rocsparse_index_base_b.kd
    .uniform_work_group_size: 1
    .uses_dynamic_stack: false
    .vgpr_count:     34
    .vgpr_spill_count: 0
    .wavefront_size: 64
  - .args:
      - .offset:         0
        .size:           4
        .value_kind:     by_value
      - .offset:         8
        .size:           8
        .value_kind:     by_value
      - .offset:         16
        .size:           8
        .value_kind:     by_value
      - .offset:         24
        .size:           8
        .value_kind:     by_value
      - .offset:         32
        .size:           8
        .value_kind:     by_value
      - .offset:         40
        .size:           8
        .value_kind:     by_value
      - .actual_access:  read_only
        .address_space:  global
        .offset:         48
        .size:           8
        .value_kind:     global_buffer
      - .actual_access:  read_only
        .address_space:  global
        .offset:         56
        .size:           8
        .value_kind:     global_buffer
      - .actual_access:  read_only
        .address_space:  global
        .offset:         64
        .size:           8
        .value_kind:     global_buffer
      - .actual_access:  read_only
        .address_space:  global
        .offset:         72
        .size:           8
        .value_kind:     global_buffer
      - .offset:         80
        .size:           8
        .value_kind:     by_value
      - .offset:         88
        .size:           8
        .value_kind:     by_value
      - .offset:         96
        .size:           8
        .value_kind:     by_value
      - .address_space:  global
        .offset:         104
        .size:           8
        .value_kind:     global_buffer
      - .offset:         112
        .size:           8
        .value_kind:     by_value
      - .offset:         120
        .size:           8
        .value_kind:     by_value
      - .offset:         128
        .size:           4
        .value_kind:     by_value
      - .offset:         132
        .size:           4
        .value_kind:     by_value
      - .offset:         136
        .size:           1
        .value_kind:     by_value
      - .offset:         144
        .size:           4
        .value_kind:     hidden_block_count_x
      - .offset:         148
        .size:           4
        .value_kind:     hidden_block_count_y
      - .offset:         152
        .size:           4
        .value_kind:     hidden_block_count_z
      - .offset:         156
        .size:           2
        .value_kind:     hidden_group_size_x
      - .offset:         158
        .size:           2
        .value_kind:     hidden_group_size_y
      - .offset:         160
        .size:           2
        .value_kind:     hidden_group_size_z
      - .offset:         162
        .size:           2
        .value_kind:     hidden_remainder_x
      - .offset:         164
        .size:           2
        .value_kind:     hidden_remainder_y
      - .offset:         166
        .size:           2
        .value_kind:     hidden_remainder_z
      - .offset:         184
        .size:           8
        .value_kind:     hidden_global_offset_x
      - .offset:         192
        .size:           8
        .value_kind:     hidden_global_offset_y
      - .offset:         200
        .size:           8
        .value_kind:     hidden_global_offset_z
      - .offset:         208
        .size:           2
        .value_kind:     hidden_grid_dims
    .group_segment_fixed_size: 896
    .kernarg_segment_align: 8
    .kernarg_segment_size: 400
    .language:       OpenCL C
    .language_version:
      - 2
      - 0
    .max_flat_workgroup_size: 64
    .name:           _ZN9rocsparseL29bsrmmnt_small_blockdim_kernelILj64ELj16ELj2EllDF16_DF16_ffEEv20rocsparse_direction_T3_S2_llNS_24const_host_device_scalarIT7_EEPKT2_PKS2_PKT4_PKT5_llS5_PT6_ll16rocsparse_order_21rocsparse_index_base_b
    .private_segment_fixed_size: 0
    .sgpr_count:     40
    .sgpr_spill_count: 0
    .symbol:         _ZN9rocsparseL29bsrmmnt_small_blockdim_kernelILj64ELj16ELj2EllDF16_DF16_ffEEv20rocsparse_direction_T3_S2_llNS_24const_host_device_scalarIT7_EEPKT2_PKS2_PKT4_PKT5_llS5_PT6_ll16rocsparse_order_21rocsparse_index_base_b.kd
    .uniform_work_group_size: 1
    .uses_dynamic_stack: false
    .vgpr_count:     34
    .vgpr_spill_count: 0
    .wavefront_size: 64
  - .args:
      - .offset:         0
        .size:           4
        .value_kind:     by_value
      - .offset:         8
        .size:           8
        .value_kind:     by_value
      - .offset:         16
        .size:           8
        .value_kind:     by_value
      - .offset:         24
        .size:           8
        .value_kind:     by_value
      - .offset:         32
        .size:           8
        .value_kind:     by_value
      - .offset:         40
        .size:           8
        .value_kind:     by_value
      - .actual_access:  read_only
        .address_space:  global
        .offset:         48
        .size:           8
        .value_kind:     global_buffer
      - .actual_access:  read_only
        .address_space:  global
        .offset:         56
        .size:           8
        .value_kind:     global_buffer
      - .actual_access:  read_only
        .address_space:  global
        .offset:         64
        .size:           8
        .value_kind:     global_buffer
      - .actual_access:  read_only
        .address_space:  global
        .offset:         72
        .size:           8
        .value_kind:     global_buffer
      - .offset:         80
        .size:           8
        .value_kind:     by_value
      - .offset:         88
        .size:           8
        .value_kind:     by_value
      - .offset:         96
        .size:           8
        .value_kind:     by_value
      - .address_space:  global
        .offset:         104
        .size:           8
        .value_kind:     global_buffer
      - .offset:         112
        .size:           8
        .value_kind:     by_value
      - .offset:         120
        .size:           8
        .value_kind:     by_value
      - .offset:         128
        .size:           4
        .value_kind:     by_value
      - .offset:         132
        .size:           4
        .value_kind:     by_value
      - .offset:         136
        .size:           1
        .value_kind:     by_value
      - .offset:         144
        .size:           4
        .value_kind:     hidden_block_count_x
      - .offset:         148
        .size:           4
        .value_kind:     hidden_block_count_y
      - .offset:         152
        .size:           4
        .value_kind:     hidden_block_count_z
      - .offset:         156
        .size:           2
        .value_kind:     hidden_group_size_x
      - .offset:         158
        .size:           2
        .value_kind:     hidden_group_size_y
      - .offset:         160
        .size:           2
        .value_kind:     hidden_group_size_z
      - .offset:         162
        .size:           2
        .value_kind:     hidden_remainder_x
      - .offset:         164
        .size:           2
        .value_kind:     hidden_remainder_y
      - .offset:         166
        .size:           2
        .value_kind:     hidden_remainder_z
      - .offset:         184
        .size:           8
        .value_kind:     hidden_global_offset_x
      - .offset:         192
        .size:           8
        .value_kind:     hidden_global_offset_y
      - .offset:         200
        .size:           8
        .value_kind:     hidden_global_offset_z
      - .offset:         208
        .size:           2
        .value_kind:     hidden_grid_dims
    .group_segment_fixed_size: 896
    .kernarg_segment_align: 8
    .kernarg_segment_size: 400
    .language:       OpenCL C
    .language_version:
      - 2
      - 0
    .max_flat_workgroup_size: 64
    .name:           _ZN9rocsparseL29bsrmmnt_small_blockdim_kernelILj64ELj32ELj2EllDF16_DF16_ffEEv20rocsparse_direction_T3_S2_llNS_24const_host_device_scalarIT7_EEPKT2_PKS2_PKT4_PKT5_llS5_PT6_ll16rocsparse_order_21rocsparse_index_base_b
    .private_segment_fixed_size: 0
    .sgpr_count:     40
    .sgpr_spill_count: 0
    .symbol:         _ZN9rocsparseL29bsrmmnt_small_blockdim_kernelILj64ELj32ELj2EllDF16_DF16_ffEEv20rocsparse_direction_T3_S2_llNS_24const_host_device_scalarIT7_EEPKT2_PKS2_PKT4_PKT5_llS5_PT6_ll16rocsparse_order_21rocsparse_index_base_b.kd
    .uniform_work_group_size: 1
    .uses_dynamic_stack: false
    .vgpr_count:     34
    .vgpr_spill_count: 0
    .wavefront_size: 64
  - .args:
      - .offset:         0
        .size:           4
        .value_kind:     by_value
      - .offset:         8
        .size:           8
        .value_kind:     by_value
      - .offset:         16
        .size:           8
        .value_kind:     by_value
      - .offset:         24
        .size:           8
        .value_kind:     by_value
      - .offset:         32
        .size:           8
        .value_kind:     by_value
      - .offset:         40
        .size:           8
        .value_kind:     by_value
      - .actual_access:  read_only
        .address_space:  global
        .offset:         48
        .size:           8
        .value_kind:     global_buffer
      - .actual_access:  read_only
        .address_space:  global
        .offset:         56
        .size:           8
        .value_kind:     global_buffer
      - .actual_access:  read_only
        .address_space:  global
        .offset:         64
        .size:           8
        .value_kind:     global_buffer
      - .actual_access:  read_only
        .address_space:  global
        .offset:         72
        .size:           8
        .value_kind:     global_buffer
      - .offset:         80
        .size:           8
        .value_kind:     by_value
      - .offset:         88
        .size:           8
        .value_kind:     by_value
      - .offset:         96
        .size:           8
        .value_kind:     by_value
      - .address_space:  global
        .offset:         104
        .size:           8
        .value_kind:     global_buffer
      - .offset:         112
        .size:           8
        .value_kind:     by_value
      - .offset:         120
        .size:           8
        .value_kind:     by_value
      - .offset:         128
        .size:           4
        .value_kind:     by_value
      - .offset:         132
        .size:           4
        .value_kind:     by_value
      - .offset:         136
        .size:           1
        .value_kind:     by_value
      - .offset:         144
        .size:           4
        .value_kind:     hidden_block_count_x
      - .offset:         148
        .size:           4
        .value_kind:     hidden_block_count_y
      - .offset:         152
        .size:           4
        .value_kind:     hidden_block_count_z
      - .offset:         156
        .size:           2
        .value_kind:     hidden_group_size_x
      - .offset:         158
        .size:           2
        .value_kind:     hidden_group_size_y
      - .offset:         160
        .size:           2
        .value_kind:     hidden_group_size_z
      - .offset:         162
        .size:           2
        .value_kind:     hidden_remainder_x
      - .offset:         164
        .size:           2
        .value_kind:     hidden_remainder_y
      - .offset:         166
        .size:           2
        .value_kind:     hidden_remainder_z
      - .offset:         184
        .size:           8
        .value_kind:     hidden_global_offset_x
      - .offset:         192
        .size:           8
        .value_kind:     hidden_global_offset_y
      - .offset:         200
        .size:           8
        .value_kind:     hidden_global_offset_z
      - .offset:         208
        .size:           2
        .value_kind:     hidden_grid_dims
    .group_segment_fixed_size: 896
    .kernarg_segment_align: 8
    .kernarg_segment_size: 400
    .language:       OpenCL C
    .language_version:
      - 2
      - 0
    .max_flat_workgroup_size: 64
    .name:           _ZN9rocsparseL29bsrmmnt_small_blockdim_kernelILj64ELj64ELj2EllDF16_DF16_ffEEv20rocsparse_direction_T3_S2_llNS_24const_host_device_scalarIT7_EEPKT2_PKS2_PKT4_PKT5_llS5_PT6_ll16rocsparse_order_21rocsparse_index_base_b
    .private_segment_fixed_size: 0
    .sgpr_count:     41
    .sgpr_spill_count: 0
    .symbol:         _ZN9rocsparseL29bsrmmnt_small_blockdim_kernelILj64ELj64ELj2EllDF16_DF16_ffEEv20rocsparse_direction_T3_S2_llNS_24const_host_device_scalarIT7_EEPKT2_PKS2_PKT4_PKT5_llS5_PT6_ll16rocsparse_order_21rocsparse_index_base_b.kd
    .uniform_work_group_size: 1
    .uses_dynamic_stack: false
    .vgpr_count:     33
    .vgpr_spill_count: 0
    .wavefront_size: 64
  - .args:
      - .offset:         0
        .size:           4
        .value_kind:     by_value
      - .offset:         4
        .size:           4
        .value_kind:     by_value
      - .offset:         8
        .size:           4
        .value_kind:     by_value
      - .offset:         16
        .size:           8
        .value_kind:     by_value
      - .offset:         24
        .size:           8
        .value_kind:     by_value
      - .offset:         32
        .size:           8
        .value_kind:     by_value
      - .actual_access:  read_only
        .address_space:  global
        .offset:         40
        .size:           8
        .value_kind:     global_buffer
      - .actual_access:  read_only
        .address_space:  global
        .offset:         48
        .size:           8
        .value_kind:     global_buffer
      - .actual_access:  read_only
        .address_space:  global
        .offset:         56
        .size:           8
        .value_kind:     global_buffer
      - .actual_access:  read_only
        .address_space:  global
        .offset:         64
        .size:           8
        .value_kind:     global_buffer
      - .offset:         72
        .size:           8
        .value_kind:     by_value
      - .offset:         80
        .size:           8
        .value_kind:     by_value
      - .offset:         88
        .size:           8
        .value_kind:     by_value
      - .address_space:  global
        .offset:         96
        .size:           8
        .value_kind:     global_buffer
      - .offset:         104
        .size:           8
        .value_kind:     by_value
      - .offset:         112
        .size:           8
        .value_kind:     by_value
      - .offset:         120
        .size:           4
        .value_kind:     by_value
      - .offset:         124
        .size:           4
        .value_kind:     by_value
      - .offset:         128
        .size:           1
        .value_kind:     by_value
      - .offset:         136
        .size:           4
        .value_kind:     hidden_block_count_x
      - .offset:         140
        .size:           4
        .value_kind:     hidden_block_count_y
      - .offset:         144
        .size:           4
        .value_kind:     hidden_block_count_z
      - .offset:         148
        .size:           2
        .value_kind:     hidden_group_size_x
      - .offset:         150
        .size:           2
        .value_kind:     hidden_group_size_y
      - .offset:         152
        .size:           2
        .value_kind:     hidden_group_size_z
      - .offset:         154
        .size:           2
        .value_kind:     hidden_remainder_x
      - .offset:         156
        .size:           2
        .value_kind:     hidden_remainder_y
      - .offset:         158
        .size:           2
        .value_kind:     hidden_remainder_z
      - .offset:         176
        .size:           8
        .value_kind:     hidden_global_offset_x
      - .offset:         184
        .size:           8
        .value_kind:     hidden_global_offset_y
      - .offset:         192
        .size:           8
        .value_kind:     hidden_global_offset_z
      - .offset:         200
        .size:           2
        .value_kind:     hidden_grid_dims
    .group_segment_fixed_size: 448
    .kernarg_segment_align: 8
    .kernarg_segment_size: 392
    .language:       OpenCL C
    .language_version:
      - 2
      - 0
    .max_flat_workgroup_size: 64
    .name:           _ZN9rocsparseL29bsrmmnt_small_blockdim_kernelILj64ELj8ELj2EiiaaiiEEv20rocsparse_direction_T3_S2_llNS_24const_host_device_scalarIT7_EEPKT2_PKS2_PKT4_PKT5_llS5_PT6_ll16rocsparse_order_21rocsparse_index_base_b
    .private_segment_fixed_size: 0
    .sgpr_count:     40
    .sgpr_spill_count: 0
    .symbol:         _ZN9rocsparseL29bsrmmnt_small_blockdim_kernelILj64ELj8ELj2EiiaaiiEEv20rocsparse_direction_T3_S2_llNS_24const_host_device_scalarIT7_EEPKT2_PKS2_PKT4_PKT5_llS5_PT6_ll16rocsparse_order_21rocsparse_index_base_b.kd
    .uniform_work_group_size: 1
    .uses_dynamic_stack: false
    .vgpr_count:     27
    .vgpr_spill_count: 0
    .wavefront_size: 64
  - .args:
      - .offset:         0
        .size:           4
        .value_kind:     by_value
      - .offset:         4
        .size:           4
        .value_kind:     by_value
      - .offset:         8
        .size:           4
        .value_kind:     by_value
      - .offset:         16
        .size:           8
        .value_kind:     by_value
      - .offset:         24
        .size:           8
        .value_kind:     by_value
      - .offset:         32
        .size:           8
        .value_kind:     by_value
      - .actual_access:  read_only
        .address_space:  global
        .offset:         40
        .size:           8
        .value_kind:     global_buffer
      - .actual_access:  read_only
        .address_space:  global
        .offset:         48
        .size:           8
        .value_kind:     global_buffer
      - .actual_access:  read_only
        .address_space:  global
        .offset:         56
        .size:           8
        .value_kind:     global_buffer
      - .actual_access:  read_only
        .address_space:  global
        .offset:         64
        .size:           8
        .value_kind:     global_buffer
      - .offset:         72
        .size:           8
        .value_kind:     by_value
      - .offset:         80
        .size:           8
        .value_kind:     by_value
      - .offset:         88
        .size:           8
        .value_kind:     by_value
      - .address_space:  global
        .offset:         96
        .size:           8
        .value_kind:     global_buffer
      - .offset:         104
        .size:           8
        .value_kind:     by_value
      - .offset:         112
        .size:           8
        .value_kind:     by_value
      - .offset:         120
        .size:           4
        .value_kind:     by_value
      - .offset:         124
        .size:           4
        .value_kind:     by_value
      - .offset:         128
        .size:           1
        .value_kind:     by_value
      - .offset:         136
        .size:           4
        .value_kind:     hidden_block_count_x
      - .offset:         140
        .size:           4
        .value_kind:     hidden_block_count_y
      - .offset:         144
        .size:           4
        .value_kind:     hidden_block_count_z
      - .offset:         148
        .size:           2
        .value_kind:     hidden_group_size_x
      - .offset:         150
        .size:           2
        .value_kind:     hidden_group_size_y
      - .offset:         152
        .size:           2
        .value_kind:     hidden_group_size_z
      - .offset:         154
        .size:           2
        .value_kind:     hidden_remainder_x
      - .offset:         156
        .size:           2
        .value_kind:     hidden_remainder_y
      - .offset:         158
        .size:           2
        .value_kind:     hidden_remainder_z
      - .offset:         176
        .size:           8
        .value_kind:     hidden_global_offset_x
      - .offset:         184
        .size:           8
        .value_kind:     hidden_global_offset_y
      - .offset:         192
        .size:           8
        .value_kind:     hidden_global_offset_z
      - .offset:         200
        .size:           2
        .value_kind:     hidden_grid_dims
    .group_segment_fixed_size: 448
    .kernarg_segment_align: 8
    .kernarg_segment_size: 392
    .language:       OpenCL C
    .language_version:
      - 2
      - 0
    .max_flat_workgroup_size: 64
    .name:           _ZN9rocsparseL29bsrmmnt_small_blockdim_kernelILj64ELj16ELj2EiiaaiiEEv20rocsparse_direction_T3_S2_llNS_24const_host_device_scalarIT7_EEPKT2_PKS2_PKT4_PKT5_llS5_PT6_ll16rocsparse_order_21rocsparse_index_base_b
    .private_segment_fixed_size: 0
    .sgpr_count:     40
    .sgpr_spill_count: 0
    .symbol:         _ZN9rocsparseL29bsrmmnt_small_blockdim_kernelILj64ELj16ELj2EiiaaiiEEv20rocsparse_direction_T3_S2_llNS_24const_host_device_scalarIT7_EEPKT2_PKS2_PKT4_PKT5_llS5_PT6_ll16rocsparse_order_21rocsparse_index_base_b.kd
    .uniform_work_group_size: 1
    .uses_dynamic_stack: false
    .vgpr_count:     27
    .vgpr_spill_count: 0
    .wavefront_size: 64
  - .args:
      - .offset:         0
        .size:           4
        .value_kind:     by_value
      - .offset:         4
        .size:           4
        .value_kind:     by_value
      - .offset:         8
        .size:           4
        .value_kind:     by_value
      - .offset:         16
        .size:           8
        .value_kind:     by_value
      - .offset:         24
        .size:           8
        .value_kind:     by_value
      - .offset:         32
        .size:           8
        .value_kind:     by_value
      - .actual_access:  read_only
        .address_space:  global
        .offset:         40
        .size:           8
        .value_kind:     global_buffer
      - .actual_access:  read_only
        .address_space:  global
        .offset:         48
        .size:           8
        .value_kind:     global_buffer
      - .actual_access:  read_only
        .address_space:  global
        .offset:         56
        .size:           8
        .value_kind:     global_buffer
      - .actual_access:  read_only
        .address_space:  global
        .offset:         64
        .size:           8
        .value_kind:     global_buffer
      - .offset:         72
        .size:           8
        .value_kind:     by_value
      - .offset:         80
        .size:           8
        .value_kind:     by_value
      - .offset:         88
        .size:           8
        .value_kind:     by_value
      - .address_space:  global
        .offset:         96
        .size:           8
        .value_kind:     global_buffer
      - .offset:         104
        .size:           8
        .value_kind:     by_value
      - .offset:         112
        .size:           8
        .value_kind:     by_value
      - .offset:         120
        .size:           4
        .value_kind:     by_value
      - .offset:         124
        .size:           4
        .value_kind:     by_value
      - .offset:         128
        .size:           1
        .value_kind:     by_value
      - .offset:         136
        .size:           4
        .value_kind:     hidden_block_count_x
      - .offset:         140
        .size:           4
        .value_kind:     hidden_block_count_y
      - .offset:         144
        .size:           4
        .value_kind:     hidden_block_count_z
      - .offset:         148
        .size:           2
        .value_kind:     hidden_group_size_x
      - .offset:         150
        .size:           2
        .value_kind:     hidden_group_size_y
      - .offset:         152
        .size:           2
        .value_kind:     hidden_group_size_z
      - .offset:         154
        .size:           2
        .value_kind:     hidden_remainder_x
      - .offset:         156
        .size:           2
        .value_kind:     hidden_remainder_y
      - .offset:         158
        .size:           2
        .value_kind:     hidden_remainder_z
      - .offset:         176
        .size:           8
        .value_kind:     hidden_global_offset_x
      - .offset:         184
        .size:           8
        .value_kind:     hidden_global_offset_y
      - .offset:         192
        .size:           8
        .value_kind:     hidden_global_offset_z
      - .offset:         200
        .size:           2
        .value_kind:     hidden_grid_dims
    .group_segment_fixed_size: 448
    .kernarg_segment_align: 8
    .kernarg_segment_size: 392
    .language:       OpenCL C
    .language_version:
      - 2
      - 0
    .max_flat_workgroup_size: 64
    .name:           _ZN9rocsparseL29bsrmmnt_small_blockdim_kernelILj64ELj32ELj2EiiaaiiEEv20rocsparse_direction_T3_S2_llNS_24const_host_device_scalarIT7_EEPKT2_PKS2_PKT4_PKT5_llS5_PT6_ll16rocsparse_order_21rocsparse_index_base_b
    .private_segment_fixed_size: 0
    .sgpr_count:     40
    .sgpr_spill_count: 0
    .symbol:         _ZN9rocsparseL29bsrmmnt_small_blockdim_kernelILj64ELj32ELj2EiiaaiiEEv20rocsparse_direction_T3_S2_llNS_24const_host_device_scalarIT7_EEPKT2_PKS2_PKT4_PKT5_llS5_PT6_ll16rocsparse_order_21rocsparse_index_base_b.kd
    .uniform_work_group_size: 1
    .uses_dynamic_stack: false
    .vgpr_count:     27
    .vgpr_spill_count: 0
    .wavefront_size: 64
  - .args:
      - .offset:         0
        .size:           4
        .value_kind:     by_value
      - .offset:         4
        .size:           4
        .value_kind:     by_value
      - .offset:         8
        .size:           4
        .value_kind:     by_value
      - .offset:         16
        .size:           8
        .value_kind:     by_value
      - .offset:         24
        .size:           8
        .value_kind:     by_value
      - .offset:         32
        .size:           8
        .value_kind:     by_value
      - .actual_access:  read_only
        .address_space:  global
        .offset:         40
        .size:           8
        .value_kind:     global_buffer
      - .actual_access:  read_only
        .address_space:  global
        .offset:         48
        .size:           8
        .value_kind:     global_buffer
      - .actual_access:  read_only
        .address_space:  global
        .offset:         56
        .size:           8
        .value_kind:     global_buffer
      - .actual_access:  read_only
        .address_space:  global
        .offset:         64
        .size:           8
        .value_kind:     global_buffer
      - .offset:         72
        .size:           8
        .value_kind:     by_value
      - .offset:         80
        .size:           8
        .value_kind:     by_value
      - .offset:         88
        .size:           8
        .value_kind:     by_value
      - .address_space:  global
        .offset:         96
        .size:           8
        .value_kind:     global_buffer
      - .offset:         104
        .size:           8
        .value_kind:     by_value
      - .offset:         112
        .size:           8
        .value_kind:     by_value
      - .offset:         120
        .size:           4
        .value_kind:     by_value
      - .offset:         124
        .size:           4
        .value_kind:     by_value
      - .offset:         128
        .size:           1
        .value_kind:     by_value
      - .offset:         136
        .size:           4
        .value_kind:     hidden_block_count_x
      - .offset:         140
        .size:           4
        .value_kind:     hidden_block_count_y
      - .offset:         144
        .size:           4
        .value_kind:     hidden_block_count_z
      - .offset:         148
        .size:           2
        .value_kind:     hidden_group_size_x
      - .offset:         150
        .size:           2
        .value_kind:     hidden_group_size_y
      - .offset:         152
        .size:           2
        .value_kind:     hidden_group_size_z
      - .offset:         154
        .size:           2
        .value_kind:     hidden_remainder_x
      - .offset:         156
        .size:           2
        .value_kind:     hidden_remainder_y
      - .offset:         158
        .size:           2
        .value_kind:     hidden_remainder_z
      - .offset:         176
        .size:           8
        .value_kind:     hidden_global_offset_x
      - .offset:         184
        .size:           8
        .value_kind:     hidden_global_offset_y
      - .offset:         192
        .size:           8
        .value_kind:     hidden_global_offset_z
      - .offset:         200
        .size:           2
        .value_kind:     hidden_grid_dims
    .group_segment_fixed_size: 448
    .kernarg_segment_align: 8
    .kernarg_segment_size: 392
    .language:       OpenCL C
    .language_version:
      - 2
      - 0
    .max_flat_workgroup_size: 64
    .name:           _ZN9rocsparseL29bsrmmnt_small_blockdim_kernelILj64ELj64ELj2EiiaaiiEEv20rocsparse_direction_T3_S2_llNS_24const_host_device_scalarIT7_EEPKT2_PKS2_PKT4_PKT5_llS5_PT6_ll16rocsparse_order_21rocsparse_index_base_b
    .private_segment_fixed_size: 0
    .sgpr_count:     47
    .sgpr_spill_count: 0
    .symbol:         _ZN9rocsparseL29bsrmmnt_small_blockdim_kernelILj64ELj64ELj2EiiaaiiEEv20rocsparse_direction_T3_S2_llNS_24const_host_device_scalarIT7_EEPKT2_PKS2_PKT4_PKT5_llS5_PT6_ll16rocsparse_order_21rocsparse_index_base_b.kd
    .uniform_work_group_size: 1
    .uses_dynamic_stack: false
    .vgpr_count:     28
    .vgpr_spill_count: 0
    .wavefront_size: 64
  - .args:
      - .offset:         0
        .size:           4
        .value_kind:     by_value
      - .offset:         4
        .size:           4
        .value_kind:     by_value
      - .offset:         8
        .size:           4
        .value_kind:     by_value
      - .offset:         16
        .size:           8
        .value_kind:     by_value
      - .offset:         24
        .size:           8
        .value_kind:     by_value
      - .offset:         32
        .size:           8
        .value_kind:     by_value
      - .actual_access:  read_only
        .address_space:  global
        .offset:         40
        .size:           8
        .value_kind:     global_buffer
      - .actual_access:  read_only
        .address_space:  global
        .offset:         48
        .size:           8
        .value_kind:     global_buffer
      - .actual_access:  read_only
        .address_space:  global
        .offset:         56
        .size:           8
        .value_kind:     global_buffer
      - .actual_access:  read_only
        .address_space:  global
        .offset:         64
        .size:           8
        .value_kind:     global_buffer
      - .offset:         72
        .size:           8
        .value_kind:     by_value
      - .offset:         80
        .size:           8
        .value_kind:     by_value
      - .offset:         88
        .size:           8
        .value_kind:     by_value
      - .address_space:  global
        .offset:         96
        .size:           8
        .value_kind:     global_buffer
      - .offset:         104
        .size:           8
        .value_kind:     by_value
      - .offset:         112
        .size:           8
        .value_kind:     by_value
      - .offset:         120
        .size:           4
        .value_kind:     by_value
      - .offset:         124
        .size:           4
        .value_kind:     by_value
      - .offset:         128
        .size:           1
        .value_kind:     by_value
      - .offset:         136
        .size:           4
        .value_kind:     hidden_block_count_x
      - .offset:         140
        .size:           4
        .value_kind:     hidden_block_count_y
      - .offset:         144
        .size:           4
        .value_kind:     hidden_block_count_z
      - .offset:         148
        .size:           2
        .value_kind:     hidden_group_size_x
      - .offset:         150
        .size:           2
        .value_kind:     hidden_group_size_y
      - .offset:         152
        .size:           2
        .value_kind:     hidden_group_size_z
      - .offset:         154
        .size:           2
        .value_kind:     hidden_remainder_x
      - .offset:         156
        .size:           2
        .value_kind:     hidden_remainder_y
      - .offset:         158
        .size:           2
        .value_kind:     hidden_remainder_z
      - .offset:         176
        .size:           8
        .value_kind:     hidden_global_offset_x
      - .offset:         184
        .size:           8
        .value_kind:     hidden_global_offset_y
      - .offset:         192
        .size:           8
        .value_kind:     hidden_global_offset_z
      - .offset:         200
        .size:           2
        .value_kind:     hidden_grid_dims
    .group_segment_fixed_size: 448
    .kernarg_segment_align: 8
    .kernarg_segment_size: 392
    .language:       OpenCL C
    .language_version:
      - 2
      - 0
    .max_flat_workgroup_size: 64
    .name:           _ZN9rocsparseL29bsrmmnt_small_blockdim_kernelILj64ELj8ELj2EliaaiiEEv20rocsparse_direction_T3_S2_llNS_24const_host_device_scalarIT7_EEPKT2_PKS2_PKT4_PKT5_llS5_PT6_ll16rocsparse_order_21rocsparse_index_base_b
    .private_segment_fixed_size: 0
    .sgpr_count:     40
    .sgpr_spill_count: 0
    .symbol:         _ZN9rocsparseL29bsrmmnt_small_blockdim_kernelILj64ELj8ELj2EliaaiiEEv20rocsparse_direction_T3_S2_llNS_24const_host_device_scalarIT7_EEPKT2_PKS2_PKT4_PKT5_llS5_PT6_ll16rocsparse_order_21rocsparse_index_base_b.kd
    .uniform_work_group_size: 1
    .uses_dynamic_stack: false
    .vgpr_count:     30
    .vgpr_spill_count: 0
    .wavefront_size: 64
  - .args:
      - .offset:         0
        .size:           4
        .value_kind:     by_value
      - .offset:         4
        .size:           4
        .value_kind:     by_value
      - .offset:         8
        .size:           4
        .value_kind:     by_value
      - .offset:         16
        .size:           8
        .value_kind:     by_value
      - .offset:         24
        .size:           8
        .value_kind:     by_value
      - .offset:         32
        .size:           8
        .value_kind:     by_value
      - .actual_access:  read_only
        .address_space:  global
        .offset:         40
        .size:           8
        .value_kind:     global_buffer
      - .actual_access:  read_only
        .address_space:  global
        .offset:         48
        .size:           8
        .value_kind:     global_buffer
      - .actual_access:  read_only
        .address_space:  global
        .offset:         56
        .size:           8
        .value_kind:     global_buffer
      - .actual_access:  read_only
        .address_space:  global
        .offset:         64
        .size:           8
        .value_kind:     global_buffer
      - .offset:         72
        .size:           8
        .value_kind:     by_value
      - .offset:         80
        .size:           8
        .value_kind:     by_value
      - .offset:         88
        .size:           8
        .value_kind:     by_value
      - .address_space:  global
        .offset:         96
        .size:           8
        .value_kind:     global_buffer
      - .offset:         104
        .size:           8
        .value_kind:     by_value
      - .offset:         112
        .size:           8
        .value_kind:     by_value
      - .offset:         120
        .size:           4
        .value_kind:     by_value
      - .offset:         124
        .size:           4
        .value_kind:     by_value
      - .offset:         128
        .size:           1
        .value_kind:     by_value
      - .offset:         136
        .size:           4
        .value_kind:     hidden_block_count_x
      - .offset:         140
        .size:           4
        .value_kind:     hidden_block_count_y
      - .offset:         144
        .size:           4
        .value_kind:     hidden_block_count_z
      - .offset:         148
        .size:           2
        .value_kind:     hidden_group_size_x
      - .offset:         150
        .size:           2
        .value_kind:     hidden_group_size_y
      - .offset:         152
        .size:           2
        .value_kind:     hidden_group_size_z
      - .offset:         154
        .size:           2
        .value_kind:     hidden_remainder_x
      - .offset:         156
        .size:           2
        .value_kind:     hidden_remainder_y
      - .offset:         158
        .size:           2
        .value_kind:     hidden_remainder_z
      - .offset:         176
        .size:           8
        .value_kind:     hidden_global_offset_x
      - .offset:         184
        .size:           8
        .value_kind:     hidden_global_offset_y
      - .offset:         192
        .size:           8
        .value_kind:     hidden_global_offset_z
      - .offset:         200
        .size:           2
        .value_kind:     hidden_grid_dims
    .group_segment_fixed_size: 448
    .kernarg_segment_align: 8
    .kernarg_segment_size: 392
    .language:       OpenCL C
    .language_version:
      - 2
      - 0
    .max_flat_workgroup_size: 64
    .name:           _ZN9rocsparseL29bsrmmnt_small_blockdim_kernelILj64ELj16ELj2EliaaiiEEv20rocsparse_direction_T3_S2_llNS_24const_host_device_scalarIT7_EEPKT2_PKS2_PKT4_PKT5_llS5_PT6_ll16rocsparse_order_21rocsparse_index_base_b
    .private_segment_fixed_size: 0
    .sgpr_count:     40
    .sgpr_spill_count: 0
    .symbol:         _ZN9rocsparseL29bsrmmnt_small_blockdim_kernelILj64ELj16ELj2EliaaiiEEv20rocsparse_direction_T3_S2_llNS_24const_host_device_scalarIT7_EEPKT2_PKS2_PKT4_PKT5_llS5_PT6_ll16rocsparse_order_21rocsparse_index_base_b.kd
    .uniform_work_group_size: 1
    .uses_dynamic_stack: false
    .vgpr_count:     30
    .vgpr_spill_count: 0
    .wavefront_size: 64
  - .args:
      - .offset:         0
        .size:           4
        .value_kind:     by_value
      - .offset:         4
        .size:           4
        .value_kind:     by_value
      - .offset:         8
        .size:           4
        .value_kind:     by_value
      - .offset:         16
        .size:           8
        .value_kind:     by_value
      - .offset:         24
        .size:           8
        .value_kind:     by_value
      - .offset:         32
        .size:           8
        .value_kind:     by_value
      - .actual_access:  read_only
        .address_space:  global
        .offset:         40
        .size:           8
        .value_kind:     global_buffer
      - .actual_access:  read_only
        .address_space:  global
        .offset:         48
        .size:           8
        .value_kind:     global_buffer
      - .actual_access:  read_only
        .address_space:  global
        .offset:         56
        .size:           8
        .value_kind:     global_buffer
      - .actual_access:  read_only
        .address_space:  global
        .offset:         64
        .size:           8
        .value_kind:     global_buffer
      - .offset:         72
        .size:           8
        .value_kind:     by_value
      - .offset:         80
        .size:           8
        .value_kind:     by_value
      - .offset:         88
        .size:           8
        .value_kind:     by_value
      - .address_space:  global
        .offset:         96
        .size:           8
        .value_kind:     global_buffer
      - .offset:         104
        .size:           8
        .value_kind:     by_value
      - .offset:         112
        .size:           8
        .value_kind:     by_value
      - .offset:         120
        .size:           4
        .value_kind:     by_value
      - .offset:         124
        .size:           4
        .value_kind:     by_value
      - .offset:         128
        .size:           1
        .value_kind:     by_value
      - .offset:         136
        .size:           4
        .value_kind:     hidden_block_count_x
      - .offset:         140
        .size:           4
        .value_kind:     hidden_block_count_y
      - .offset:         144
        .size:           4
        .value_kind:     hidden_block_count_z
      - .offset:         148
        .size:           2
        .value_kind:     hidden_group_size_x
      - .offset:         150
        .size:           2
        .value_kind:     hidden_group_size_y
      - .offset:         152
        .size:           2
        .value_kind:     hidden_group_size_z
      - .offset:         154
        .size:           2
        .value_kind:     hidden_remainder_x
      - .offset:         156
        .size:           2
        .value_kind:     hidden_remainder_y
      - .offset:         158
        .size:           2
        .value_kind:     hidden_remainder_z
      - .offset:         176
        .size:           8
        .value_kind:     hidden_global_offset_x
      - .offset:         184
        .size:           8
        .value_kind:     hidden_global_offset_y
      - .offset:         192
        .size:           8
        .value_kind:     hidden_global_offset_z
      - .offset:         200
        .size:           2
        .value_kind:     hidden_grid_dims
    .group_segment_fixed_size: 448
    .kernarg_segment_align: 8
    .kernarg_segment_size: 392
    .language:       OpenCL C
    .language_version:
      - 2
      - 0
    .max_flat_workgroup_size: 64
    .name:           _ZN9rocsparseL29bsrmmnt_small_blockdim_kernelILj64ELj32ELj2EliaaiiEEv20rocsparse_direction_T3_S2_llNS_24const_host_device_scalarIT7_EEPKT2_PKS2_PKT4_PKT5_llS5_PT6_ll16rocsparse_order_21rocsparse_index_base_b
    .private_segment_fixed_size: 0
    .sgpr_count:     40
    .sgpr_spill_count: 0
    .symbol:         _ZN9rocsparseL29bsrmmnt_small_blockdim_kernelILj64ELj32ELj2EliaaiiEEv20rocsparse_direction_T3_S2_llNS_24const_host_device_scalarIT7_EEPKT2_PKS2_PKT4_PKT5_llS5_PT6_ll16rocsparse_order_21rocsparse_index_base_b.kd
    .uniform_work_group_size: 1
    .uses_dynamic_stack: false
    .vgpr_count:     30
    .vgpr_spill_count: 0
    .wavefront_size: 64
  - .args:
      - .offset:         0
        .size:           4
        .value_kind:     by_value
      - .offset:         4
        .size:           4
        .value_kind:     by_value
      - .offset:         8
        .size:           4
        .value_kind:     by_value
      - .offset:         16
        .size:           8
        .value_kind:     by_value
      - .offset:         24
        .size:           8
        .value_kind:     by_value
      - .offset:         32
        .size:           8
        .value_kind:     by_value
      - .actual_access:  read_only
        .address_space:  global
        .offset:         40
        .size:           8
        .value_kind:     global_buffer
      - .actual_access:  read_only
        .address_space:  global
        .offset:         48
        .size:           8
        .value_kind:     global_buffer
      - .actual_access:  read_only
        .address_space:  global
        .offset:         56
        .size:           8
        .value_kind:     global_buffer
      - .actual_access:  read_only
        .address_space:  global
        .offset:         64
        .size:           8
        .value_kind:     global_buffer
      - .offset:         72
        .size:           8
        .value_kind:     by_value
      - .offset:         80
        .size:           8
        .value_kind:     by_value
      - .offset:         88
        .size:           8
        .value_kind:     by_value
      - .address_space:  global
        .offset:         96
        .size:           8
        .value_kind:     global_buffer
      - .offset:         104
        .size:           8
        .value_kind:     by_value
      - .offset:         112
        .size:           8
        .value_kind:     by_value
      - .offset:         120
        .size:           4
        .value_kind:     by_value
      - .offset:         124
        .size:           4
        .value_kind:     by_value
      - .offset:         128
        .size:           1
        .value_kind:     by_value
      - .offset:         136
        .size:           4
        .value_kind:     hidden_block_count_x
      - .offset:         140
        .size:           4
        .value_kind:     hidden_block_count_y
      - .offset:         144
        .size:           4
        .value_kind:     hidden_block_count_z
      - .offset:         148
        .size:           2
        .value_kind:     hidden_group_size_x
      - .offset:         150
        .size:           2
        .value_kind:     hidden_group_size_y
      - .offset:         152
        .size:           2
        .value_kind:     hidden_group_size_z
      - .offset:         154
        .size:           2
        .value_kind:     hidden_remainder_x
      - .offset:         156
        .size:           2
        .value_kind:     hidden_remainder_y
      - .offset:         158
        .size:           2
        .value_kind:     hidden_remainder_z
      - .offset:         176
        .size:           8
        .value_kind:     hidden_global_offset_x
      - .offset:         184
        .size:           8
        .value_kind:     hidden_global_offset_y
      - .offset:         192
        .size:           8
        .value_kind:     hidden_global_offset_z
      - .offset:         200
        .size:           2
        .value_kind:     hidden_grid_dims
    .group_segment_fixed_size: 448
    .kernarg_segment_align: 8
    .kernarg_segment_size: 392
    .language:       OpenCL C
    .language_version:
      - 2
      - 0
    .max_flat_workgroup_size: 64
    .name:           _ZN9rocsparseL29bsrmmnt_small_blockdim_kernelILj64ELj64ELj2EliaaiiEEv20rocsparse_direction_T3_S2_llNS_24const_host_device_scalarIT7_EEPKT2_PKS2_PKT4_PKT5_llS5_PT6_ll16rocsparse_order_21rocsparse_index_base_b
    .private_segment_fixed_size: 0
    .sgpr_count:     46
    .sgpr_spill_count: 0
    .symbol:         _ZN9rocsparseL29bsrmmnt_small_blockdim_kernelILj64ELj64ELj2EliaaiiEEv20rocsparse_direction_T3_S2_llNS_24const_host_device_scalarIT7_EEPKT2_PKS2_PKT4_PKT5_llS5_PT6_ll16rocsparse_order_21rocsparse_index_base_b.kd
    .uniform_work_group_size: 1
    .uses_dynamic_stack: false
    .vgpr_count:     32
    .vgpr_spill_count: 0
    .wavefront_size: 64
  - .args:
      - .offset:         0
        .size:           4
        .value_kind:     by_value
      - .offset:         8
        .size:           8
        .value_kind:     by_value
      - .offset:         16
        .size:           8
        .value_kind:     by_value
      - .offset:         24
        .size:           8
        .value_kind:     by_value
      - .offset:         32
        .size:           8
        .value_kind:     by_value
      - .offset:         40
        .size:           8
        .value_kind:     by_value
      - .actual_access:  read_only
        .address_space:  global
        .offset:         48
        .size:           8
        .value_kind:     global_buffer
      - .actual_access:  read_only
        .address_space:  global
        .offset:         56
        .size:           8
        .value_kind:     global_buffer
      - .actual_access:  read_only
        .address_space:  global
        .offset:         64
        .size:           8
        .value_kind:     global_buffer
      - .actual_access:  read_only
        .address_space:  global
        .offset:         72
        .size:           8
        .value_kind:     global_buffer
      - .offset:         80
        .size:           8
        .value_kind:     by_value
      - .offset:         88
        .size:           8
        .value_kind:     by_value
      - .offset:         96
        .size:           8
        .value_kind:     by_value
      - .address_space:  global
        .offset:         104
        .size:           8
        .value_kind:     global_buffer
      - .offset:         112
        .size:           8
        .value_kind:     by_value
      - .offset:         120
        .size:           8
        .value_kind:     by_value
      - .offset:         128
        .size:           4
        .value_kind:     by_value
      - .offset:         132
        .size:           4
        .value_kind:     by_value
      - .offset:         136
        .size:           1
        .value_kind:     by_value
      - .offset:         144
        .size:           4
        .value_kind:     hidden_block_count_x
      - .offset:         148
        .size:           4
        .value_kind:     hidden_block_count_y
      - .offset:         152
        .size:           4
        .value_kind:     hidden_block_count_z
      - .offset:         156
        .size:           2
        .value_kind:     hidden_group_size_x
      - .offset:         158
        .size:           2
        .value_kind:     hidden_group_size_y
      - .offset:         160
        .size:           2
        .value_kind:     hidden_group_size_z
      - .offset:         162
        .size:           2
        .value_kind:     hidden_remainder_x
      - .offset:         164
        .size:           2
        .value_kind:     hidden_remainder_y
      - .offset:         166
        .size:           2
        .value_kind:     hidden_remainder_z
      - .offset:         184
        .size:           8
        .value_kind:     hidden_global_offset_x
      - .offset:         192
        .size:           8
        .value_kind:     hidden_global_offset_y
      - .offset:         200
        .size:           8
        .value_kind:     hidden_global_offset_z
      - .offset:         208
        .size:           2
        .value_kind:     hidden_grid_dims
    .group_segment_fixed_size: 704
    .kernarg_segment_align: 8
    .kernarg_segment_size: 400
    .language:       OpenCL C
    .language_version:
      - 2
      - 0
    .max_flat_workgroup_size: 64
    .name:           _ZN9rocsparseL29bsrmmnt_small_blockdim_kernelILj64ELj8ELj2EllaaiiEEv20rocsparse_direction_T3_S2_llNS_24const_host_device_scalarIT7_EEPKT2_PKS2_PKT4_PKT5_llS5_PT6_ll16rocsparse_order_21rocsparse_index_base_b
    .private_segment_fixed_size: 0
    .sgpr_count:     41
    .sgpr_spill_count: 0
    .symbol:         _ZN9rocsparseL29bsrmmnt_small_blockdim_kernelILj64ELj8ELj2EllaaiiEEv20rocsparse_direction_T3_S2_llNS_24const_host_device_scalarIT7_EEPKT2_PKS2_PKT4_PKT5_llS5_PT6_ll16rocsparse_order_21rocsparse_index_base_b.kd
    .uniform_work_group_size: 1
    .uses_dynamic_stack: false
    .vgpr_count:     34
    .vgpr_spill_count: 0
    .wavefront_size: 64
  - .args:
      - .offset:         0
        .size:           4
        .value_kind:     by_value
      - .offset:         8
        .size:           8
        .value_kind:     by_value
      - .offset:         16
        .size:           8
        .value_kind:     by_value
      - .offset:         24
        .size:           8
        .value_kind:     by_value
      - .offset:         32
        .size:           8
        .value_kind:     by_value
      - .offset:         40
        .size:           8
        .value_kind:     by_value
      - .actual_access:  read_only
        .address_space:  global
        .offset:         48
        .size:           8
        .value_kind:     global_buffer
      - .actual_access:  read_only
        .address_space:  global
        .offset:         56
        .size:           8
        .value_kind:     global_buffer
      - .actual_access:  read_only
        .address_space:  global
        .offset:         64
        .size:           8
        .value_kind:     global_buffer
      - .actual_access:  read_only
        .address_space:  global
        .offset:         72
        .size:           8
        .value_kind:     global_buffer
      - .offset:         80
        .size:           8
        .value_kind:     by_value
      - .offset:         88
        .size:           8
        .value_kind:     by_value
      - .offset:         96
        .size:           8
        .value_kind:     by_value
      - .address_space:  global
        .offset:         104
        .size:           8
        .value_kind:     global_buffer
      - .offset:         112
        .size:           8
        .value_kind:     by_value
      - .offset:         120
        .size:           8
        .value_kind:     by_value
      - .offset:         128
        .size:           4
        .value_kind:     by_value
      - .offset:         132
        .size:           4
        .value_kind:     by_value
      - .offset:         136
        .size:           1
        .value_kind:     by_value
      - .offset:         144
        .size:           4
        .value_kind:     hidden_block_count_x
      - .offset:         148
        .size:           4
        .value_kind:     hidden_block_count_y
      - .offset:         152
        .size:           4
        .value_kind:     hidden_block_count_z
      - .offset:         156
        .size:           2
        .value_kind:     hidden_group_size_x
      - .offset:         158
        .size:           2
        .value_kind:     hidden_group_size_y
      - .offset:         160
        .size:           2
        .value_kind:     hidden_group_size_z
      - .offset:         162
        .size:           2
        .value_kind:     hidden_remainder_x
      - .offset:         164
        .size:           2
        .value_kind:     hidden_remainder_y
      - .offset:         166
        .size:           2
        .value_kind:     hidden_remainder_z
      - .offset:         184
        .size:           8
        .value_kind:     hidden_global_offset_x
      - .offset:         192
        .size:           8
        .value_kind:     hidden_global_offset_y
      - .offset:         200
        .size:           8
        .value_kind:     hidden_global_offset_z
      - .offset:         208
        .size:           2
        .value_kind:     hidden_grid_dims
    .group_segment_fixed_size: 704
    .kernarg_segment_align: 8
    .kernarg_segment_size: 400
    .language:       OpenCL C
    .language_version:
      - 2
      - 0
    .max_flat_workgroup_size: 64
    .name:           _ZN9rocsparseL29bsrmmnt_small_blockdim_kernelILj64ELj16ELj2EllaaiiEEv20rocsparse_direction_T3_S2_llNS_24const_host_device_scalarIT7_EEPKT2_PKS2_PKT4_PKT5_llS5_PT6_ll16rocsparse_order_21rocsparse_index_base_b
    .private_segment_fixed_size: 0
    .sgpr_count:     41
    .sgpr_spill_count: 0
    .symbol:         _ZN9rocsparseL29bsrmmnt_small_blockdim_kernelILj64ELj16ELj2EllaaiiEEv20rocsparse_direction_T3_S2_llNS_24const_host_device_scalarIT7_EEPKT2_PKS2_PKT4_PKT5_llS5_PT6_ll16rocsparse_order_21rocsparse_index_base_b.kd
    .uniform_work_group_size: 1
    .uses_dynamic_stack: false
    .vgpr_count:     34
    .vgpr_spill_count: 0
    .wavefront_size: 64
  - .args:
      - .offset:         0
        .size:           4
        .value_kind:     by_value
      - .offset:         8
        .size:           8
        .value_kind:     by_value
      - .offset:         16
        .size:           8
        .value_kind:     by_value
      - .offset:         24
        .size:           8
        .value_kind:     by_value
      - .offset:         32
        .size:           8
        .value_kind:     by_value
      - .offset:         40
        .size:           8
        .value_kind:     by_value
      - .actual_access:  read_only
        .address_space:  global
        .offset:         48
        .size:           8
        .value_kind:     global_buffer
      - .actual_access:  read_only
        .address_space:  global
        .offset:         56
        .size:           8
        .value_kind:     global_buffer
      - .actual_access:  read_only
        .address_space:  global
        .offset:         64
        .size:           8
        .value_kind:     global_buffer
      - .actual_access:  read_only
        .address_space:  global
        .offset:         72
        .size:           8
        .value_kind:     global_buffer
      - .offset:         80
        .size:           8
        .value_kind:     by_value
      - .offset:         88
        .size:           8
        .value_kind:     by_value
      - .offset:         96
        .size:           8
        .value_kind:     by_value
      - .address_space:  global
        .offset:         104
        .size:           8
        .value_kind:     global_buffer
      - .offset:         112
        .size:           8
        .value_kind:     by_value
      - .offset:         120
        .size:           8
        .value_kind:     by_value
      - .offset:         128
        .size:           4
        .value_kind:     by_value
      - .offset:         132
        .size:           4
        .value_kind:     by_value
      - .offset:         136
        .size:           1
        .value_kind:     by_value
      - .offset:         144
        .size:           4
        .value_kind:     hidden_block_count_x
      - .offset:         148
        .size:           4
        .value_kind:     hidden_block_count_y
      - .offset:         152
        .size:           4
        .value_kind:     hidden_block_count_z
      - .offset:         156
        .size:           2
        .value_kind:     hidden_group_size_x
      - .offset:         158
        .size:           2
        .value_kind:     hidden_group_size_y
      - .offset:         160
        .size:           2
        .value_kind:     hidden_group_size_z
      - .offset:         162
        .size:           2
        .value_kind:     hidden_remainder_x
      - .offset:         164
        .size:           2
        .value_kind:     hidden_remainder_y
      - .offset:         166
        .size:           2
        .value_kind:     hidden_remainder_z
      - .offset:         184
        .size:           8
        .value_kind:     hidden_global_offset_x
      - .offset:         192
        .size:           8
        .value_kind:     hidden_global_offset_y
      - .offset:         200
        .size:           8
        .value_kind:     hidden_global_offset_z
      - .offset:         208
        .size:           2
        .value_kind:     hidden_grid_dims
    .group_segment_fixed_size: 704
    .kernarg_segment_align: 8
    .kernarg_segment_size: 400
    .language:       OpenCL C
    .language_version:
      - 2
      - 0
    .max_flat_workgroup_size: 64
    .name:           _ZN9rocsparseL29bsrmmnt_small_blockdim_kernelILj64ELj32ELj2EllaaiiEEv20rocsparse_direction_T3_S2_llNS_24const_host_device_scalarIT7_EEPKT2_PKS2_PKT4_PKT5_llS5_PT6_ll16rocsparse_order_21rocsparse_index_base_b
    .private_segment_fixed_size: 0
    .sgpr_count:     41
    .sgpr_spill_count: 0
    .symbol:         _ZN9rocsparseL29bsrmmnt_small_blockdim_kernelILj64ELj32ELj2EllaaiiEEv20rocsparse_direction_T3_S2_llNS_24const_host_device_scalarIT7_EEPKT2_PKS2_PKT4_PKT5_llS5_PT6_ll16rocsparse_order_21rocsparse_index_base_b.kd
    .uniform_work_group_size: 1
    .uses_dynamic_stack: false
    .vgpr_count:     34
    .vgpr_spill_count: 0
    .wavefront_size: 64
  - .args:
      - .offset:         0
        .size:           4
        .value_kind:     by_value
      - .offset:         8
        .size:           8
        .value_kind:     by_value
      - .offset:         16
        .size:           8
        .value_kind:     by_value
      - .offset:         24
        .size:           8
        .value_kind:     by_value
      - .offset:         32
        .size:           8
        .value_kind:     by_value
      - .offset:         40
        .size:           8
        .value_kind:     by_value
      - .actual_access:  read_only
        .address_space:  global
        .offset:         48
        .size:           8
        .value_kind:     global_buffer
      - .actual_access:  read_only
        .address_space:  global
        .offset:         56
        .size:           8
        .value_kind:     global_buffer
      - .actual_access:  read_only
        .address_space:  global
        .offset:         64
        .size:           8
        .value_kind:     global_buffer
      - .actual_access:  read_only
        .address_space:  global
        .offset:         72
        .size:           8
        .value_kind:     global_buffer
      - .offset:         80
        .size:           8
        .value_kind:     by_value
      - .offset:         88
        .size:           8
        .value_kind:     by_value
      - .offset:         96
        .size:           8
        .value_kind:     by_value
      - .address_space:  global
        .offset:         104
        .size:           8
        .value_kind:     global_buffer
      - .offset:         112
        .size:           8
        .value_kind:     by_value
      - .offset:         120
        .size:           8
        .value_kind:     by_value
      - .offset:         128
        .size:           4
        .value_kind:     by_value
      - .offset:         132
        .size:           4
        .value_kind:     by_value
      - .offset:         136
        .size:           1
        .value_kind:     by_value
      - .offset:         144
        .size:           4
        .value_kind:     hidden_block_count_x
      - .offset:         148
        .size:           4
        .value_kind:     hidden_block_count_y
      - .offset:         152
        .size:           4
        .value_kind:     hidden_block_count_z
      - .offset:         156
        .size:           2
        .value_kind:     hidden_group_size_x
      - .offset:         158
        .size:           2
        .value_kind:     hidden_group_size_y
      - .offset:         160
        .size:           2
        .value_kind:     hidden_group_size_z
      - .offset:         162
        .size:           2
        .value_kind:     hidden_remainder_x
      - .offset:         164
        .size:           2
        .value_kind:     hidden_remainder_y
      - .offset:         166
        .size:           2
        .value_kind:     hidden_remainder_z
      - .offset:         184
        .size:           8
        .value_kind:     hidden_global_offset_x
      - .offset:         192
        .size:           8
        .value_kind:     hidden_global_offset_y
      - .offset:         200
        .size:           8
        .value_kind:     hidden_global_offset_z
      - .offset:         208
        .size:           2
        .value_kind:     hidden_grid_dims
    .group_segment_fixed_size: 704
    .kernarg_segment_align: 8
    .kernarg_segment_size: 400
    .language:       OpenCL C
    .language_version:
      - 2
      - 0
    .max_flat_workgroup_size: 64
    .name:           _ZN9rocsparseL29bsrmmnt_small_blockdim_kernelILj64ELj64ELj2EllaaiiEEv20rocsparse_direction_T3_S2_llNS_24const_host_device_scalarIT7_EEPKT2_PKS2_PKT4_PKT5_llS5_PT6_ll16rocsparse_order_21rocsparse_index_base_b
    .private_segment_fixed_size: 0
    .sgpr_count:     41
    .sgpr_spill_count: 0
    .symbol:         _ZN9rocsparseL29bsrmmnt_small_blockdim_kernelILj64ELj64ELj2EllaaiiEEv20rocsparse_direction_T3_S2_llNS_24const_host_device_scalarIT7_EEPKT2_PKS2_PKT4_PKT5_llS5_PT6_ll16rocsparse_order_21rocsparse_index_base_b.kd
    .uniform_work_group_size: 1
    .uses_dynamic_stack: false
    .vgpr_count:     34
    .vgpr_spill_count: 0
    .wavefront_size: 64
  - .args:
      - .offset:         0
        .size:           4
        .value_kind:     by_value
      - .offset:         4
        .size:           4
        .value_kind:     by_value
      - .offset:         8
        .size:           4
        .value_kind:     by_value
      - .offset:         16
        .size:           8
        .value_kind:     by_value
      - .offset:         24
        .size:           8
        .value_kind:     by_value
      - .offset:         32
        .size:           8
        .value_kind:     by_value
      - .actual_access:  read_only
        .address_space:  global
        .offset:         40
        .size:           8
        .value_kind:     global_buffer
      - .actual_access:  read_only
        .address_space:  global
        .offset:         48
        .size:           8
        .value_kind:     global_buffer
      - .actual_access:  read_only
        .address_space:  global
        .offset:         56
        .size:           8
        .value_kind:     global_buffer
      - .actual_access:  read_only
        .address_space:  global
        .offset:         64
        .size:           8
        .value_kind:     global_buffer
      - .offset:         72
        .size:           8
        .value_kind:     by_value
      - .offset:         80
        .size:           8
        .value_kind:     by_value
      - .offset:         88
        .size:           8
        .value_kind:     by_value
      - .address_space:  global
        .offset:         96
        .size:           8
        .value_kind:     global_buffer
      - .offset:         104
        .size:           8
        .value_kind:     by_value
      - .offset:         112
        .size:           8
        .value_kind:     by_value
      - .offset:         120
        .size:           4
        .value_kind:     by_value
      - .offset:         124
        .size:           4
        .value_kind:     by_value
      - .offset:         128
        .size:           1
        .value_kind:     by_value
      - .offset:         136
        .size:           4
        .value_kind:     hidden_block_count_x
      - .offset:         140
        .size:           4
        .value_kind:     hidden_block_count_y
      - .offset:         144
        .size:           4
        .value_kind:     hidden_block_count_z
      - .offset:         148
        .size:           2
        .value_kind:     hidden_group_size_x
      - .offset:         150
        .size:           2
        .value_kind:     hidden_group_size_y
      - .offset:         152
        .size:           2
        .value_kind:     hidden_group_size_z
      - .offset:         154
        .size:           2
        .value_kind:     hidden_remainder_x
      - .offset:         156
        .size:           2
        .value_kind:     hidden_remainder_y
      - .offset:         158
        .size:           2
        .value_kind:     hidden_remainder_z
      - .offset:         176
        .size:           8
        .value_kind:     hidden_global_offset_x
      - .offset:         184
        .size:           8
        .value_kind:     hidden_global_offset_y
      - .offset:         192
        .size:           8
        .value_kind:     hidden_global_offset_z
      - .offset:         200
        .size:           2
        .value_kind:     hidden_grid_dims
    .group_segment_fixed_size: 448
    .kernarg_segment_align: 8
    .kernarg_segment_size: 392
    .language:       OpenCL C
    .language_version:
      - 2
      - 0
    .max_flat_workgroup_size: 64
    .name:           _ZN9rocsparseL29bsrmmnt_small_blockdim_kernelILj64ELj8ELj2EiiaaffEEv20rocsparse_direction_T3_S2_llNS_24const_host_device_scalarIT7_EEPKT2_PKS2_PKT4_PKT5_llS5_PT6_ll16rocsparse_order_21rocsparse_index_base_b
    .private_segment_fixed_size: 0
    .sgpr_count:     36
    .sgpr_spill_count: 0
    .symbol:         _ZN9rocsparseL29bsrmmnt_small_blockdim_kernelILj64ELj8ELj2EiiaaffEEv20rocsparse_direction_T3_S2_llNS_24const_host_device_scalarIT7_EEPKT2_PKS2_PKT4_PKT5_llS5_PT6_ll16rocsparse_order_21rocsparse_index_base_b.kd
    .uniform_work_group_size: 1
    .uses_dynamic_stack: false
    .vgpr_count:     28
    .vgpr_spill_count: 0
    .wavefront_size: 64
  - .args:
      - .offset:         0
        .size:           4
        .value_kind:     by_value
      - .offset:         4
        .size:           4
        .value_kind:     by_value
      - .offset:         8
        .size:           4
        .value_kind:     by_value
      - .offset:         16
        .size:           8
        .value_kind:     by_value
      - .offset:         24
        .size:           8
        .value_kind:     by_value
      - .offset:         32
        .size:           8
        .value_kind:     by_value
      - .actual_access:  read_only
        .address_space:  global
        .offset:         40
        .size:           8
        .value_kind:     global_buffer
      - .actual_access:  read_only
        .address_space:  global
        .offset:         48
        .size:           8
        .value_kind:     global_buffer
      - .actual_access:  read_only
        .address_space:  global
        .offset:         56
        .size:           8
        .value_kind:     global_buffer
      - .actual_access:  read_only
        .address_space:  global
        .offset:         64
        .size:           8
        .value_kind:     global_buffer
      - .offset:         72
        .size:           8
        .value_kind:     by_value
      - .offset:         80
        .size:           8
        .value_kind:     by_value
      - .offset:         88
        .size:           8
        .value_kind:     by_value
      - .address_space:  global
        .offset:         96
        .size:           8
        .value_kind:     global_buffer
      - .offset:         104
        .size:           8
        .value_kind:     by_value
      - .offset:         112
        .size:           8
        .value_kind:     by_value
      - .offset:         120
        .size:           4
        .value_kind:     by_value
      - .offset:         124
        .size:           4
        .value_kind:     by_value
      - .offset:         128
        .size:           1
        .value_kind:     by_value
      - .offset:         136
        .size:           4
        .value_kind:     hidden_block_count_x
      - .offset:         140
        .size:           4
        .value_kind:     hidden_block_count_y
      - .offset:         144
        .size:           4
        .value_kind:     hidden_block_count_z
      - .offset:         148
        .size:           2
        .value_kind:     hidden_group_size_x
      - .offset:         150
        .size:           2
        .value_kind:     hidden_group_size_y
      - .offset:         152
        .size:           2
        .value_kind:     hidden_group_size_z
      - .offset:         154
        .size:           2
        .value_kind:     hidden_remainder_x
      - .offset:         156
        .size:           2
        .value_kind:     hidden_remainder_y
      - .offset:         158
        .size:           2
        .value_kind:     hidden_remainder_z
      - .offset:         176
        .size:           8
        .value_kind:     hidden_global_offset_x
      - .offset:         184
        .size:           8
        .value_kind:     hidden_global_offset_y
      - .offset:         192
        .size:           8
        .value_kind:     hidden_global_offset_z
      - .offset:         200
        .size:           2
        .value_kind:     hidden_grid_dims
    .group_segment_fixed_size: 448
    .kernarg_segment_align: 8
    .kernarg_segment_size: 392
    .language:       OpenCL C
    .language_version:
      - 2
      - 0
    .max_flat_workgroup_size: 64
    .name:           _ZN9rocsparseL29bsrmmnt_small_blockdim_kernelILj64ELj16ELj2EiiaaffEEv20rocsparse_direction_T3_S2_llNS_24const_host_device_scalarIT7_EEPKT2_PKS2_PKT4_PKT5_llS5_PT6_ll16rocsparse_order_21rocsparse_index_base_b
    .private_segment_fixed_size: 0
    .sgpr_count:     36
    .sgpr_spill_count: 0
    .symbol:         _ZN9rocsparseL29bsrmmnt_small_blockdim_kernelILj64ELj16ELj2EiiaaffEEv20rocsparse_direction_T3_S2_llNS_24const_host_device_scalarIT7_EEPKT2_PKS2_PKT4_PKT5_llS5_PT6_ll16rocsparse_order_21rocsparse_index_base_b.kd
    .uniform_work_group_size: 1
    .uses_dynamic_stack: false
    .vgpr_count:     28
    .vgpr_spill_count: 0
    .wavefront_size: 64
  - .args:
      - .offset:         0
        .size:           4
        .value_kind:     by_value
      - .offset:         4
        .size:           4
        .value_kind:     by_value
      - .offset:         8
        .size:           4
        .value_kind:     by_value
      - .offset:         16
        .size:           8
        .value_kind:     by_value
      - .offset:         24
        .size:           8
        .value_kind:     by_value
      - .offset:         32
        .size:           8
        .value_kind:     by_value
      - .actual_access:  read_only
        .address_space:  global
        .offset:         40
        .size:           8
        .value_kind:     global_buffer
      - .actual_access:  read_only
        .address_space:  global
        .offset:         48
        .size:           8
        .value_kind:     global_buffer
      - .actual_access:  read_only
        .address_space:  global
        .offset:         56
        .size:           8
        .value_kind:     global_buffer
      - .actual_access:  read_only
        .address_space:  global
        .offset:         64
        .size:           8
        .value_kind:     global_buffer
      - .offset:         72
        .size:           8
        .value_kind:     by_value
      - .offset:         80
        .size:           8
        .value_kind:     by_value
      - .offset:         88
        .size:           8
        .value_kind:     by_value
      - .address_space:  global
        .offset:         96
        .size:           8
        .value_kind:     global_buffer
      - .offset:         104
        .size:           8
        .value_kind:     by_value
      - .offset:         112
        .size:           8
        .value_kind:     by_value
      - .offset:         120
        .size:           4
        .value_kind:     by_value
      - .offset:         124
        .size:           4
        .value_kind:     by_value
      - .offset:         128
        .size:           1
        .value_kind:     by_value
      - .offset:         136
        .size:           4
        .value_kind:     hidden_block_count_x
      - .offset:         140
        .size:           4
        .value_kind:     hidden_block_count_y
      - .offset:         144
        .size:           4
        .value_kind:     hidden_block_count_z
      - .offset:         148
        .size:           2
        .value_kind:     hidden_group_size_x
      - .offset:         150
        .size:           2
        .value_kind:     hidden_group_size_y
      - .offset:         152
        .size:           2
        .value_kind:     hidden_group_size_z
      - .offset:         154
        .size:           2
        .value_kind:     hidden_remainder_x
      - .offset:         156
        .size:           2
        .value_kind:     hidden_remainder_y
      - .offset:         158
        .size:           2
        .value_kind:     hidden_remainder_z
      - .offset:         176
        .size:           8
        .value_kind:     hidden_global_offset_x
      - .offset:         184
        .size:           8
        .value_kind:     hidden_global_offset_y
      - .offset:         192
        .size:           8
        .value_kind:     hidden_global_offset_z
      - .offset:         200
        .size:           2
        .value_kind:     hidden_grid_dims
    .group_segment_fixed_size: 448
    .kernarg_segment_align: 8
    .kernarg_segment_size: 392
    .language:       OpenCL C
    .language_version:
      - 2
      - 0
    .max_flat_workgroup_size: 64
    .name:           _ZN9rocsparseL29bsrmmnt_small_blockdim_kernelILj64ELj32ELj2EiiaaffEEv20rocsparse_direction_T3_S2_llNS_24const_host_device_scalarIT7_EEPKT2_PKS2_PKT4_PKT5_llS5_PT6_ll16rocsparse_order_21rocsparse_index_base_b
    .private_segment_fixed_size: 0
    .sgpr_count:     36
    .sgpr_spill_count: 0
    .symbol:         _ZN9rocsparseL29bsrmmnt_small_blockdim_kernelILj64ELj32ELj2EiiaaffEEv20rocsparse_direction_T3_S2_llNS_24const_host_device_scalarIT7_EEPKT2_PKS2_PKT4_PKT5_llS5_PT6_ll16rocsparse_order_21rocsparse_index_base_b.kd
    .uniform_work_group_size: 1
    .uses_dynamic_stack: false
    .vgpr_count:     28
    .vgpr_spill_count: 0
    .wavefront_size: 64
  - .args:
      - .offset:         0
        .size:           4
        .value_kind:     by_value
      - .offset:         4
        .size:           4
        .value_kind:     by_value
      - .offset:         8
        .size:           4
        .value_kind:     by_value
      - .offset:         16
        .size:           8
        .value_kind:     by_value
      - .offset:         24
        .size:           8
        .value_kind:     by_value
      - .offset:         32
        .size:           8
        .value_kind:     by_value
      - .actual_access:  read_only
        .address_space:  global
        .offset:         40
        .size:           8
        .value_kind:     global_buffer
      - .actual_access:  read_only
        .address_space:  global
        .offset:         48
        .size:           8
        .value_kind:     global_buffer
      - .actual_access:  read_only
        .address_space:  global
        .offset:         56
        .size:           8
        .value_kind:     global_buffer
      - .actual_access:  read_only
        .address_space:  global
        .offset:         64
        .size:           8
        .value_kind:     global_buffer
      - .offset:         72
        .size:           8
        .value_kind:     by_value
      - .offset:         80
        .size:           8
        .value_kind:     by_value
      - .offset:         88
        .size:           8
        .value_kind:     by_value
      - .address_space:  global
        .offset:         96
        .size:           8
        .value_kind:     global_buffer
      - .offset:         104
        .size:           8
        .value_kind:     by_value
      - .offset:         112
        .size:           8
        .value_kind:     by_value
      - .offset:         120
        .size:           4
        .value_kind:     by_value
      - .offset:         124
        .size:           4
        .value_kind:     by_value
      - .offset:         128
        .size:           1
        .value_kind:     by_value
      - .offset:         136
        .size:           4
        .value_kind:     hidden_block_count_x
      - .offset:         140
        .size:           4
        .value_kind:     hidden_block_count_y
      - .offset:         144
        .size:           4
        .value_kind:     hidden_block_count_z
      - .offset:         148
        .size:           2
        .value_kind:     hidden_group_size_x
      - .offset:         150
        .size:           2
        .value_kind:     hidden_group_size_y
      - .offset:         152
        .size:           2
        .value_kind:     hidden_group_size_z
      - .offset:         154
        .size:           2
        .value_kind:     hidden_remainder_x
      - .offset:         156
        .size:           2
        .value_kind:     hidden_remainder_y
      - .offset:         158
        .size:           2
        .value_kind:     hidden_remainder_z
      - .offset:         176
        .size:           8
        .value_kind:     hidden_global_offset_x
      - .offset:         184
        .size:           8
        .value_kind:     hidden_global_offset_y
      - .offset:         192
        .size:           8
        .value_kind:     hidden_global_offset_z
      - .offset:         200
        .size:           2
        .value_kind:     hidden_grid_dims
    .group_segment_fixed_size: 448
    .kernarg_segment_align: 8
    .kernarg_segment_size: 392
    .language:       OpenCL C
    .language_version:
      - 2
      - 0
    .max_flat_workgroup_size: 64
    .name:           _ZN9rocsparseL29bsrmmnt_small_blockdim_kernelILj64ELj64ELj2EiiaaffEEv20rocsparse_direction_T3_S2_llNS_24const_host_device_scalarIT7_EEPKT2_PKS2_PKT4_PKT5_llS5_PT6_ll16rocsparse_order_21rocsparse_index_base_b
    .private_segment_fixed_size: 0
    .sgpr_count:     38
    .sgpr_spill_count: 0
    .symbol:         _ZN9rocsparseL29bsrmmnt_small_blockdim_kernelILj64ELj64ELj2EiiaaffEEv20rocsparse_direction_T3_S2_llNS_24const_host_device_scalarIT7_EEPKT2_PKS2_PKT4_PKT5_llS5_PT6_ll16rocsparse_order_21rocsparse_index_base_b.kd
    .uniform_work_group_size: 1
    .uses_dynamic_stack: false
    .vgpr_count:     24
    .vgpr_spill_count: 0
    .wavefront_size: 64
  - .args:
      - .offset:         0
        .size:           4
        .value_kind:     by_value
      - .offset:         4
        .size:           4
        .value_kind:     by_value
      - .offset:         8
        .size:           4
        .value_kind:     by_value
      - .offset:         16
        .size:           8
        .value_kind:     by_value
      - .offset:         24
        .size:           8
        .value_kind:     by_value
      - .offset:         32
        .size:           8
        .value_kind:     by_value
      - .actual_access:  read_only
        .address_space:  global
        .offset:         40
        .size:           8
        .value_kind:     global_buffer
      - .actual_access:  read_only
        .address_space:  global
        .offset:         48
        .size:           8
        .value_kind:     global_buffer
      - .actual_access:  read_only
        .address_space:  global
        .offset:         56
        .size:           8
        .value_kind:     global_buffer
      - .actual_access:  read_only
        .address_space:  global
        .offset:         64
        .size:           8
        .value_kind:     global_buffer
      - .offset:         72
        .size:           8
        .value_kind:     by_value
      - .offset:         80
        .size:           8
        .value_kind:     by_value
      - .offset:         88
        .size:           8
        .value_kind:     by_value
      - .address_space:  global
        .offset:         96
        .size:           8
        .value_kind:     global_buffer
      - .offset:         104
        .size:           8
        .value_kind:     by_value
      - .offset:         112
        .size:           8
        .value_kind:     by_value
      - .offset:         120
        .size:           4
        .value_kind:     by_value
      - .offset:         124
        .size:           4
        .value_kind:     by_value
      - .offset:         128
        .size:           1
        .value_kind:     by_value
      - .offset:         136
        .size:           4
        .value_kind:     hidden_block_count_x
      - .offset:         140
        .size:           4
        .value_kind:     hidden_block_count_y
      - .offset:         144
        .size:           4
        .value_kind:     hidden_block_count_z
      - .offset:         148
        .size:           2
        .value_kind:     hidden_group_size_x
      - .offset:         150
        .size:           2
        .value_kind:     hidden_group_size_y
      - .offset:         152
        .size:           2
        .value_kind:     hidden_group_size_z
      - .offset:         154
        .size:           2
        .value_kind:     hidden_remainder_x
      - .offset:         156
        .size:           2
        .value_kind:     hidden_remainder_y
      - .offset:         158
        .size:           2
        .value_kind:     hidden_remainder_z
      - .offset:         176
        .size:           8
        .value_kind:     hidden_global_offset_x
      - .offset:         184
        .size:           8
        .value_kind:     hidden_global_offset_y
      - .offset:         192
        .size:           8
        .value_kind:     hidden_global_offset_z
      - .offset:         200
        .size:           2
        .value_kind:     hidden_grid_dims
    .group_segment_fixed_size: 448
    .kernarg_segment_align: 8
    .kernarg_segment_size: 392
    .language:       OpenCL C
    .language_version:
      - 2
      - 0
    .max_flat_workgroup_size: 64
    .name:           _ZN9rocsparseL29bsrmmnt_small_blockdim_kernelILj64ELj8ELj2EliaaffEEv20rocsparse_direction_T3_S2_llNS_24const_host_device_scalarIT7_EEPKT2_PKS2_PKT4_PKT5_llS5_PT6_ll16rocsparse_order_21rocsparse_index_base_b
    .private_segment_fixed_size: 0
    .sgpr_count:     36
    .sgpr_spill_count: 0
    .symbol:         _ZN9rocsparseL29bsrmmnt_small_blockdim_kernelILj64ELj8ELj2EliaaffEEv20rocsparse_direction_T3_S2_llNS_24const_host_device_scalarIT7_EEPKT2_PKS2_PKT4_PKT5_llS5_PT6_ll16rocsparse_order_21rocsparse_index_base_b.kd
    .uniform_work_group_size: 1
    .uses_dynamic_stack: false
    .vgpr_count:     32
    .vgpr_spill_count: 0
    .wavefront_size: 64
  - .args:
      - .offset:         0
        .size:           4
        .value_kind:     by_value
      - .offset:         4
        .size:           4
        .value_kind:     by_value
      - .offset:         8
        .size:           4
        .value_kind:     by_value
      - .offset:         16
        .size:           8
        .value_kind:     by_value
      - .offset:         24
        .size:           8
        .value_kind:     by_value
      - .offset:         32
        .size:           8
        .value_kind:     by_value
      - .actual_access:  read_only
        .address_space:  global
        .offset:         40
        .size:           8
        .value_kind:     global_buffer
      - .actual_access:  read_only
        .address_space:  global
        .offset:         48
        .size:           8
        .value_kind:     global_buffer
      - .actual_access:  read_only
        .address_space:  global
        .offset:         56
        .size:           8
        .value_kind:     global_buffer
      - .actual_access:  read_only
        .address_space:  global
        .offset:         64
        .size:           8
        .value_kind:     global_buffer
      - .offset:         72
        .size:           8
        .value_kind:     by_value
      - .offset:         80
        .size:           8
        .value_kind:     by_value
      - .offset:         88
        .size:           8
        .value_kind:     by_value
      - .address_space:  global
        .offset:         96
        .size:           8
        .value_kind:     global_buffer
      - .offset:         104
        .size:           8
        .value_kind:     by_value
      - .offset:         112
        .size:           8
        .value_kind:     by_value
      - .offset:         120
        .size:           4
        .value_kind:     by_value
      - .offset:         124
        .size:           4
        .value_kind:     by_value
      - .offset:         128
        .size:           1
        .value_kind:     by_value
      - .offset:         136
        .size:           4
        .value_kind:     hidden_block_count_x
      - .offset:         140
        .size:           4
        .value_kind:     hidden_block_count_y
      - .offset:         144
        .size:           4
        .value_kind:     hidden_block_count_z
      - .offset:         148
        .size:           2
        .value_kind:     hidden_group_size_x
      - .offset:         150
        .size:           2
        .value_kind:     hidden_group_size_y
      - .offset:         152
        .size:           2
        .value_kind:     hidden_group_size_z
      - .offset:         154
        .size:           2
        .value_kind:     hidden_remainder_x
      - .offset:         156
        .size:           2
        .value_kind:     hidden_remainder_y
      - .offset:         158
        .size:           2
        .value_kind:     hidden_remainder_z
      - .offset:         176
        .size:           8
        .value_kind:     hidden_global_offset_x
      - .offset:         184
        .size:           8
        .value_kind:     hidden_global_offset_y
      - .offset:         192
        .size:           8
        .value_kind:     hidden_global_offset_z
      - .offset:         200
        .size:           2
        .value_kind:     hidden_grid_dims
    .group_segment_fixed_size: 448
    .kernarg_segment_align: 8
    .kernarg_segment_size: 392
    .language:       OpenCL C
    .language_version:
      - 2
      - 0
    .max_flat_workgroup_size: 64
    .name:           _ZN9rocsparseL29bsrmmnt_small_blockdim_kernelILj64ELj16ELj2EliaaffEEv20rocsparse_direction_T3_S2_llNS_24const_host_device_scalarIT7_EEPKT2_PKS2_PKT4_PKT5_llS5_PT6_ll16rocsparse_order_21rocsparse_index_base_b
    .private_segment_fixed_size: 0
    .sgpr_count:     36
    .sgpr_spill_count: 0
    .symbol:         _ZN9rocsparseL29bsrmmnt_small_blockdim_kernelILj64ELj16ELj2EliaaffEEv20rocsparse_direction_T3_S2_llNS_24const_host_device_scalarIT7_EEPKT2_PKS2_PKT4_PKT5_llS5_PT6_ll16rocsparse_order_21rocsparse_index_base_b.kd
    .uniform_work_group_size: 1
    .uses_dynamic_stack: false
    .vgpr_count:     32
    .vgpr_spill_count: 0
    .wavefront_size: 64
  - .args:
      - .offset:         0
        .size:           4
        .value_kind:     by_value
      - .offset:         4
        .size:           4
        .value_kind:     by_value
      - .offset:         8
        .size:           4
        .value_kind:     by_value
      - .offset:         16
        .size:           8
        .value_kind:     by_value
      - .offset:         24
        .size:           8
        .value_kind:     by_value
      - .offset:         32
        .size:           8
        .value_kind:     by_value
      - .actual_access:  read_only
        .address_space:  global
        .offset:         40
        .size:           8
        .value_kind:     global_buffer
      - .actual_access:  read_only
        .address_space:  global
        .offset:         48
        .size:           8
        .value_kind:     global_buffer
      - .actual_access:  read_only
        .address_space:  global
        .offset:         56
        .size:           8
        .value_kind:     global_buffer
      - .actual_access:  read_only
        .address_space:  global
        .offset:         64
        .size:           8
        .value_kind:     global_buffer
      - .offset:         72
        .size:           8
        .value_kind:     by_value
      - .offset:         80
        .size:           8
        .value_kind:     by_value
      - .offset:         88
        .size:           8
        .value_kind:     by_value
      - .address_space:  global
        .offset:         96
        .size:           8
        .value_kind:     global_buffer
      - .offset:         104
        .size:           8
        .value_kind:     by_value
      - .offset:         112
        .size:           8
        .value_kind:     by_value
      - .offset:         120
        .size:           4
        .value_kind:     by_value
      - .offset:         124
        .size:           4
        .value_kind:     by_value
      - .offset:         128
        .size:           1
        .value_kind:     by_value
      - .offset:         136
        .size:           4
        .value_kind:     hidden_block_count_x
      - .offset:         140
        .size:           4
        .value_kind:     hidden_block_count_y
      - .offset:         144
        .size:           4
        .value_kind:     hidden_block_count_z
      - .offset:         148
        .size:           2
        .value_kind:     hidden_group_size_x
      - .offset:         150
        .size:           2
        .value_kind:     hidden_group_size_y
      - .offset:         152
        .size:           2
        .value_kind:     hidden_group_size_z
      - .offset:         154
        .size:           2
        .value_kind:     hidden_remainder_x
      - .offset:         156
        .size:           2
        .value_kind:     hidden_remainder_y
      - .offset:         158
        .size:           2
        .value_kind:     hidden_remainder_z
      - .offset:         176
        .size:           8
        .value_kind:     hidden_global_offset_x
      - .offset:         184
        .size:           8
        .value_kind:     hidden_global_offset_y
      - .offset:         192
        .size:           8
        .value_kind:     hidden_global_offset_z
      - .offset:         200
        .size:           2
        .value_kind:     hidden_grid_dims
    .group_segment_fixed_size: 448
    .kernarg_segment_align: 8
    .kernarg_segment_size: 392
    .language:       OpenCL C
    .language_version:
      - 2
      - 0
    .max_flat_workgroup_size: 64
    .name:           _ZN9rocsparseL29bsrmmnt_small_blockdim_kernelILj64ELj32ELj2EliaaffEEv20rocsparse_direction_T3_S2_llNS_24const_host_device_scalarIT7_EEPKT2_PKS2_PKT4_PKT5_llS5_PT6_ll16rocsparse_order_21rocsparse_index_base_b
    .private_segment_fixed_size: 0
    .sgpr_count:     36
    .sgpr_spill_count: 0
    .symbol:         _ZN9rocsparseL29bsrmmnt_small_blockdim_kernelILj64ELj32ELj2EliaaffEEv20rocsparse_direction_T3_S2_llNS_24const_host_device_scalarIT7_EEPKT2_PKS2_PKT4_PKT5_llS5_PT6_ll16rocsparse_order_21rocsparse_index_base_b.kd
    .uniform_work_group_size: 1
    .uses_dynamic_stack: false
    .vgpr_count:     32
    .vgpr_spill_count: 0
    .wavefront_size: 64
  - .args:
      - .offset:         0
        .size:           4
        .value_kind:     by_value
      - .offset:         4
        .size:           4
        .value_kind:     by_value
      - .offset:         8
        .size:           4
        .value_kind:     by_value
      - .offset:         16
        .size:           8
        .value_kind:     by_value
      - .offset:         24
        .size:           8
        .value_kind:     by_value
      - .offset:         32
        .size:           8
        .value_kind:     by_value
      - .actual_access:  read_only
        .address_space:  global
        .offset:         40
        .size:           8
        .value_kind:     global_buffer
      - .actual_access:  read_only
        .address_space:  global
        .offset:         48
        .size:           8
        .value_kind:     global_buffer
      - .actual_access:  read_only
        .address_space:  global
        .offset:         56
        .size:           8
        .value_kind:     global_buffer
      - .actual_access:  read_only
        .address_space:  global
        .offset:         64
        .size:           8
        .value_kind:     global_buffer
      - .offset:         72
        .size:           8
        .value_kind:     by_value
      - .offset:         80
        .size:           8
        .value_kind:     by_value
      - .offset:         88
        .size:           8
        .value_kind:     by_value
      - .address_space:  global
        .offset:         96
        .size:           8
        .value_kind:     global_buffer
      - .offset:         104
        .size:           8
        .value_kind:     by_value
      - .offset:         112
        .size:           8
        .value_kind:     by_value
      - .offset:         120
        .size:           4
        .value_kind:     by_value
      - .offset:         124
        .size:           4
        .value_kind:     by_value
      - .offset:         128
        .size:           1
        .value_kind:     by_value
      - .offset:         136
        .size:           4
        .value_kind:     hidden_block_count_x
      - .offset:         140
        .size:           4
        .value_kind:     hidden_block_count_y
      - .offset:         144
        .size:           4
        .value_kind:     hidden_block_count_z
      - .offset:         148
        .size:           2
        .value_kind:     hidden_group_size_x
      - .offset:         150
        .size:           2
        .value_kind:     hidden_group_size_y
      - .offset:         152
        .size:           2
        .value_kind:     hidden_group_size_z
      - .offset:         154
        .size:           2
        .value_kind:     hidden_remainder_x
      - .offset:         156
        .size:           2
        .value_kind:     hidden_remainder_y
      - .offset:         158
        .size:           2
        .value_kind:     hidden_remainder_z
      - .offset:         176
        .size:           8
        .value_kind:     hidden_global_offset_x
      - .offset:         184
        .size:           8
        .value_kind:     hidden_global_offset_y
      - .offset:         192
        .size:           8
        .value_kind:     hidden_global_offset_z
      - .offset:         200
        .size:           2
        .value_kind:     hidden_grid_dims
    .group_segment_fixed_size: 448
    .kernarg_segment_align: 8
    .kernarg_segment_size: 392
    .language:       OpenCL C
    .language_version:
      - 2
      - 0
    .max_flat_workgroup_size: 64
    .name:           _ZN9rocsparseL29bsrmmnt_small_blockdim_kernelILj64ELj64ELj2EliaaffEEv20rocsparse_direction_T3_S2_llNS_24const_host_device_scalarIT7_EEPKT2_PKS2_PKT4_PKT5_llS5_PT6_ll16rocsparse_order_21rocsparse_index_base_b
    .private_segment_fixed_size: 0
    .sgpr_count:     36
    .sgpr_spill_count: 0
    .symbol:         _ZN9rocsparseL29bsrmmnt_small_blockdim_kernelILj64ELj64ELj2EliaaffEEv20rocsparse_direction_T3_S2_llNS_24const_host_device_scalarIT7_EEPKT2_PKS2_PKT4_PKT5_llS5_PT6_ll16rocsparse_order_21rocsparse_index_base_b.kd
    .uniform_work_group_size: 1
    .uses_dynamic_stack: false
    .vgpr_count:     27
    .vgpr_spill_count: 0
    .wavefront_size: 64
  - .args:
      - .offset:         0
        .size:           4
        .value_kind:     by_value
      - .offset:         8
        .size:           8
        .value_kind:     by_value
      - .offset:         16
        .size:           8
        .value_kind:     by_value
      - .offset:         24
        .size:           8
        .value_kind:     by_value
      - .offset:         32
        .size:           8
        .value_kind:     by_value
      - .offset:         40
        .size:           8
        .value_kind:     by_value
      - .actual_access:  read_only
        .address_space:  global
        .offset:         48
        .size:           8
        .value_kind:     global_buffer
      - .actual_access:  read_only
        .address_space:  global
        .offset:         56
        .size:           8
        .value_kind:     global_buffer
      - .actual_access:  read_only
        .address_space:  global
        .offset:         64
        .size:           8
        .value_kind:     global_buffer
      - .actual_access:  read_only
        .address_space:  global
        .offset:         72
        .size:           8
        .value_kind:     global_buffer
      - .offset:         80
        .size:           8
        .value_kind:     by_value
      - .offset:         88
        .size:           8
        .value_kind:     by_value
      - .offset:         96
        .size:           8
        .value_kind:     by_value
      - .address_space:  global
        .offset:         104
        .size:           8
        .value_kind:     global_buffer
      - .offset:         112
        .size:           8
        .value_kind:     by_value
      - .offset:         120
        .size:           8
        .value_kind:     by_value
      - .offset:         128
        .size:           4
        .value_kind:     by_value
      - .offset:         132
        .size:           4
        .value_kind:     by_value
      - .offset:         136
        .size:           1
        .value_kind:     by_value
      - .offset:         144
        .size:           4
        .value_kind:     hidden_block_count_x
      - .offset:         148
        .size:           4
        .value_kind:     hidden_block_count_y
      - .offset:         152
        .size:           4
        .value_kind:     hidden_block_count_z
      - .offset:         156
        .size:           2
        .value_kind:     hidden_group_size_x
      - .offset:         158
        .size:           2
        .value_kind:     hidden_group_size_y
      - .offset:         160
        .size:           2
        .value_kind:     hidden_group_size_z
      - .offset:         162
        .size:           2
        .value_kind:     hidden_remainder_x
      - .offset:         164
        .size:           2
        .value_kind:     hidden_remainder_y
      - .offset:         166
        .size:           2
        .value_kind:     hidden_remainder_z
      - .offset:         184
        .size:           8
        .value_kind:     hidden_global_offset_x
      - .offset:         192
        .size:           8
        .value_kind:     hidden_global_offset_y
      - .offset:         200
        .size:           8
        .value_kind:     hidden_global_offset_z
      - .offset:         208
        .size:           2
        .value_kind:     hidden_grid_dims
    .group_segment_fixed_size: 704
    .kernarg_segment_align: 8
    .kernarg_segment_size: 400
    .language:       OpenCL C
    .language_version:
      - 2
      - 0
    .max_flat_workgroup_size: 64
    .name:           _ZN9rocsparseL29bsrmmnt_small_blockdim_kernelILj64ELj8ELj2EllaaffEEv20rocsparse_direction_T3_S2_llNS_24const_host_device_scalarIT7_EEPKT2_PKS2_PKT4_PKT5_llS5_PT6_ll16rocsparse_order_21rocsparse_index_base_b
    .private_segment_fixed_size: 0
    .sgpr_count:     38
    .sgpr_spill_count: 0
    .symbol:         _ZN9rocsparseL29bsrmmnt_small_blockdim_kernelILj64ELj8ELj2EllaaffEEv20rocsparse_direction_T3_S2_llNS_24const_host_device_scalarIT7_EEPKT2_PKS2_PKT4_PKT5_llS5_PT6_ll16rocsparse_order_21rocsparse_index_base_b.kd
    .uniform_work_group_size: 1
    .uses_dynamic_stack: false
    .vgpr_count:     34
    .vgpr_spill_count: 0
    .wavefront_size: 64
  - .args:
      - .offset:         0
        .size:           4
        .value_kind:     by_value
      - .offset:         8
        .size:           8
        .value_kind:     by_value
      - .offset:         16
        .size:           8
        .value_kind:     by_value
      - .offset:         24
        .size:           8
        .value_kind:     by_value
      - .offset:         32
        .size:           8
        .value_kind:     by_value
      - .offset:         40
        .size:           8
        .value_kind:     by_value
      - .actual_access:  read_only
        .address_space:  global
        .offset:         48
        .size:           8
        .value_kind:     global_buffer
      - .actual_access:  read_only
        .address_space:  global
        .offset:         56
        .size:           8
        .value_kind:     global_buffer
      - .actual_access:  read_only
        .address_space:  global
        .offset:         64
        .size:           8
        .value_kind:     global_buffer
      - .actual_access:  read_only
        .address_space:  global
        .offset:         72
        .size:           8
        .value_kind:     global_buffer
      - .offset:         80
        .size:           8
        .value_kind:     by_value
      - .offset:         88
        .size:           8
        .value_kind:     by_value
      - .offset:         96
        .size:           8
        .value_kind:     by_value
      - .address_space:  global
        .offset:         104
        .size:           8
        .value_kind:     global_buffer
      - .offset:         112
        .size:           8
        .value_kind:     by_value
      - .offset:         120
        .size:           8
        .value_kind:     by_value
      - .offset:         128
        .size:           4
        .value_kind:     by_value
      - .offset:         132
        .size:           4
        .value_kind:     by_value
      - .offset:         136
        .size:           1
        .value_kind:     by_value
      - .offset:         144
        .size:           4
        .value_kind:     hidden_block_count_x
      - .offset:         148
        .size:           4
        .value_kind:     hidden_block_count_y
      - .offset:         152
        .size:           4
        .value_kind:     hidden_block_count_z
      - .offset:         156
        .size:           2
        .value_kind:     hidden_group_size_x
      - .offset:         158
        .size:           2
        .value_kind:     hidden_group_size_y
      - .offset:         160
        .size:           2
        .value_kind:     hidden_group_size_z
      - .offset:         162
        .size:           2
        .value_kind:     hidden_remainder_x
      - .offset:         164
        .size:           2
        .value_kind:     hidden_remainder_y
      - .offset:         166
        .size:           2
        .value_kind:     hidden_remainder_z
      - .offset:         184
        .size:           8
        .value_kind:     hidden_global_offset_x
      - .offset:         192
        .size:           8
        .value_kind:     hidden_global_offset_y
      - .offset:         200
        .size:           8
        .value_kind:     hidden_global_offset_z
      - .offset:         208
        .size:           2
        .value_kind:     hidden_grid_dims
    .group_segment_fixed_size: 704
    .kernarg_segment_align: 8
    .kernarg_segment_size: 400
    .language:       OpenCL C
    .language_version:
      - 2
      - 0
    .max_flat_workgroup_size: 64
    .name:           _ZN9rocsparseL29bsrmmnt_small_blockdim_kernelILj64ELj16ELj2EllaaffEEv20rocsparse_direction_T3_S2_llNS_24const_host_device_scalarIT7_EEPKT2_PKS2_PKT4_PKT5_llS5_PT6_ll16rocsparse_order_21rocsparse_index_base_b
    .private_segment_fixed_size: 0
    .sgpr_count:     38
    .sgpr_spill_count: 0
    .symbol:         _ZN9rocsparseL29bsrmmnt_small_blockdim_kernelILj64ELj16ELj2EllaaffEEv20rocsparse_direction_T3_S2_llNS_24const_host_device_scalarIT7_EEPKT2_PKS2_PKT4_PKT5_llS5_PT6_ll16rocsparse_order_21rocsparse_index_base_b.kd
    .uniform_work_group_size: 1
    .uses_dynamic_stack: false
    .vgpr_count:     34
    .vgpr_spill_count: 0
    .wavefront_size: 64
  - .args:
      - .offset:         0
        .size:           4
        .value_kind:     by_value
      - .offset:         8
        .size:           8
        .value_kind:     by_value
      - .offset:         16
        .size:           8
        .value_kind:     by_value
      - .offset:         24
        .size:           8
        .value_kind:     by_value
      - .offset:         32
        .size:           8
        .value_kind:     by_value
      - .offset:         40
        .size:           8
        .value_kind:     by_value
      - .actual_access:  read_only
        .address_space:  global
        .offset:         48
        .size:           8
        .value_kind:     global_buffer
      - .actual_access:  read_only
        .address_space:  global
        .offset:         56
        .size:           8
        .value_kind:     global_buffer
      - .actual_access:  read_only
        .address_space:  global
        .offset:         64
        .size:           8
        .value_kind:     global_buffer
      - .actual_access:  read_only
        .address_space:  global
        .offset:         72
        .size:           8
        .value_kind:     global_buffer
      - .offset:         80
        .size:           8
        .value_kind:     by_value
      - .offset:         88
        .size:           8
        .value_kind:     by_value
      - .offset:         96
        .size:           8
        .value_kind:     by_value
      - .address_space:  global
        .offset:         104
        .size:           8
        .value_kind:     global_buffer
      - .offset:         112
        .size:           8
        .value_kind:     by_value
      - .offset:         120
        .size:           8
        .value_kind:     by_value
      - .offset:         128
        .size:           4
        .value_kind:     by_value
      - .offset:         132
        .size:           4
        .value_kind:     by_value
      - .offset:         136
        .size:           1
        .value_kind:     by_value
      - .offset:         144
        .size:           4
        .value_kind:     hidden_block_count_x
      - .offset:         148
        .size:           4
        .value_kind:     hidden_block_count_y
      - .offset:         152
        .size:           4
        .value_kind:     hidden_block_count_z
      - .offset:         156
        .size:           2
        .value_kind:     hidden_group_size_x
      - .offset:         158
        .size:           2
        .value_kind:     hidden_group_size_y
      - .offset:         160
        .size:           2
        .value_kind:     hidden_group_size_z
      - .offset:         162
        .size:           2
        .value_kind:     hidden_remainder_x
      - .offset:         164
        .size:           2
        .value_kind:     hidden_remainder_y
      - .offset:         166
        .size:           2
        .value_kind:     hidden_remainder_z
      - .offset:         184
        .size:           8
        .value_kind:     hidden_global_offset_x
      - .offset:         192
        .size:           8
        .value_kind:     hidden_global_offset_y
      - .offset:         200
        .size:           8
        .value_kind:     hidden_global_offset_z
      - .offset:         208
        .size:           2
        .value_kind:     hidden_grid_dims
    .group_segment_fixed_size: 704
    .kernarg_segment_align: 8
    .kernarg_segment_size: 400
    .language:       OpenCL C
    .language_version:
      - 2
      - 0
    .max_flat_workgroup_size: 64
    .name:           _ZN9rocsparseL29bsrmmnt_small_blockdim_kernelILj64ELj32ELj2EllaaffEEv20rocsparse_direction_T3_S2_llNS_24const_host_device_scalarIT7_EEPKT2_PKS2_PKT4_PKT5_llS5_PT6_ll16rocsparse_order_21rocsparse_index_base_b
    .private_segment_fixed_size: 0
    .sgpr_count:     38
    .sgpr_spill_count: 0
    .symbol:         _ZN9rocsparseL29bsrmmnt_small_blockdim_kernelILj64ELj32ELj2EllaaffEEv20rocsparse_direction_T3_S2_llNS_24const_host_device_scalarIT7_EEPKT2_PKS2_PKT4_PKT5_llS5_PT6_ll16rocsparse_order_21rocsparse_index_base_b.kd
    .uniform_work_group_size: 1
    .uses_dynamic_stack: false
    .vgpr_count:     34
    .vgpr_spill_count: 0
    .wavefront_size: 64
  - .args:
      - .offset:         0
        .size:           4
        .value_kind:     by_value
      - .offset:         8
        .size:           8
        .value_kind:     by_value
      - .offset:         16
        .size:           8
        .value_kind:     by_value
      - .offset:         24
        .size:           8
        .value_kind:     by_value
      - .offset:         32
        .size:           8
        .value_kind:     by_value
      - .offset:         40
        .size:           8
        .value_kind:     by_value
      - .actual_access:  read_only
        .address_space:  global
        .offset:         48
        .size:           8
        .value_kind:     global_buffer
      - .actual_access:  read_only
        .address_space:  global
        .offset:         56
        .size:           8
        .value_kind:     global_buffer
      - .actual_access:  read_only
        .address_space:  global
        .offset:         64
        .size:           8
        .value_kind:     global_buffer
      - .actual_access:  read_only
        .address_space:  global
        .offset:         72
        .size:           8
        .value_kind:     global_buffer
      - .offset:         80
        .size:           8
        .value_kind:     by_value
      - .offset:         88
        .size:           8
        .value_kind:     by_value
      - .offset:         96
        .size:           8
        .value_kind:     by_value
      - .address_space:  global
        .offset:         104
        .size:           8
        .value_kind:     global_buffer
      - .offset:         112
        .size:           8
        .value_kind:     by_value
      - .offset:         120
        .size:           8
        .value_kind:     by_value
      - .offset:         128
        .size:           4
        .value_kind:     by_value
      - .offset:         132
        .size:           4
        .value_kind:     by_value
      - .offset:         136
        .size:           1
        .value_kind:     by_value
      - .offset:         144
        .size:           4
        .value_kind:     hidden_block_count_x
      - .offset:         148
        .size:           4
        .value_kind:     hidden_block_count_y
      - .offset:         152
        .size:           4
        .value_kind:     hidden_block_count_z
      - .offset:         156
        .size:           2
        .value_kind:     hidden_group_size_x
      - .offset:         158
        .size:           2
        .value_kind:     hidden_group_size_y
      - .offset:         160
        .size:           2
        .value_kind:     hidden_group_size_z
      - .offset:         162
        .size:           2
        .value_kind:     hidden_remainder_x
      - .offset:         164
        .size:           2
        .value_kind:     hidden_remainder_y
      - .offset:         166
        .size:           2
        .value_kind:     hidden_remainder_z
      - .offset:         184
        .size:           8
        .value_kind:     hidden_global_offset_x
      - .offset:         192
        .size:           8
        .value_kind:     hidden_global_offset_y
      - .offset:         200
        .size:           8
        .value_kind:     hidden_global_offset_z
      - .offset:         208
        .size:           2
        .value_kind:     hidden_grid_dims
    .group_segment_fixed_size: 704
    .kernarg_segment_align: 8
    .kernarg_segment_size: 400
    .language:       OpenCL C
    .language_version:
      - 2
      - 0
    .max_flat_workgroup_size: 64
    .name:           _ZN9rocsparseL29bsrmmnt_small_blockdim_kernelILj64ELj64ELj2EllaaffEEv20rocsparse_direction_T3_S2_llNS_24const_host_device_scalarIT7_EEPKT2_PKS2_PKT4_PKT5_llS5_PT6_ll16rocsparse_order_21rocsparse_index_base_b
    .private_segment_fixed_size: 0
    .sgpr_count:     38
    .sgpr_spill_count: 0
    .symbol:         _ZN9rocsparseL29bsrmmnt_small_blockdim_kernelILj64ELj64ELj2EllaaffEEv20rocsparse_direction_T3_S2_llNS_24const_host_device_scalarIT7_EEPKT2_PKS2_PKT4_PKT5_llS5_PT6_ll16rocsparse_order_21rocsparse_index_base_b.kd
    .uniform_work_group_size: 1
    .uses_dynamic_stack: false
    .vgpr_count:     34
    .vgpr_spill_count: 0
    .wavefront_size: 64
amdhsa.target:   amdgcn-amd-amdhsa--gfx906
amdhsa.version:
  - 1
  - 2
...

	.end_amdgpu_metadata
